;; amdgpu-corpus repo=ROCm/rocm-examples kind=compiled arch=gfx906 opt=O3
	.amdgcn_target "amdgcn-amd-amdhsa--gfx906"
	.amdhsa_code_object_version 6
	.text
	.protected	_Z5emptyiPd             ; -- Begin function _Z5emptyiPd
	.globl	_Z5emptyiPd
	.p2align	8
	.type	_Z5emptyiPd,@function
_Z5emptyiPd:                            ; @_Z5emptyiPd
; %bb.0:
	s_endpgm
	.section	.rodata,"a",@progbits
	.p2align	6, 0x0
	.amdhsa_kernel _Z5emptyiPd
		.amdhsa_group_segment_fixed_size 0
		.amdhsa_private_segment_fixed_size 0
		.amdhsa_kernarg_size 16
		.amdhsa_user_sgpr_count 6
		.amdhsa_user_sgpr_private_segment_buffer 1
		.amdhsa_user_sgpr_dispatch_ptr 0
		.amdhsa_user_sgpr_queue_ptr 0
		.amdhsa_user_sgpr_kernarg_segment_ptr 1
		.amdhsa_user_sgpr_dispatch_id 0
		.amdhsa_user_sgpr_flat_scratch_init 0
		.amdhsa_user_sgpr_private_segment_size 0
		.amdhsa_uses_dynamic_stack 0
		.amdhsa_system_sgpr_private_segment_wavefront_offset 0
		.amdhsa_system_sgpr_workgroup_id_x 1
		.amdhsa_system_sgpr_workgroup_id_y 0
		.amdhsa_system_sgpr_workgroup_id_z 0
		.amdhsa_system_sgpr_workgroup_info 0
		.amdhsa_system_vgpr_workitem_id 0
		.amdhsa_next_free_vgpr 1
		.amdhsa_next_free_sgpr 0
		.amdhsa_reserve_vcc 0
		.amdhsa_reserve_flat_scratch 0
		.amdhsa_float_round_mode_32 0
		.amdhsa_float_round_mode_16_64 0
		.amdhsa_float_denorm_mode_32 3
		.amdhsa_float_denorm_mode_16_64 3
		.amdhsa_dx10_clamp 1
		.amdhsa_ieee_mode 1
		.amdhsa_fp16_overflow 0
		.amdhsa_exception_fp_ieee_invalid_op 0
		.amdhsa_exception_fp_denorm_src 0
		.amdhsa_exception_fp_ieee_div_zero 0
		.amdhsa_exception_fp_ieee_overflow 0
		.amdhsa_exception_fp_ieee_underflow 0
		.amdhsa_exception_fp_ieee_inexact 0
		.amdhsa_exception_int_div_zero 0
	.end_amdhsa_kernel
	.text
.Lfunc_end0:
	.size	_Z5emptyiPd, .Lfunc_end0-_Z5emptyiPd
                                        ; -- End function
	.set _Z5emptyiPd.num_vgpr, 0
	.set _Z5emptyiPd.num_agpr, 0
	.set _Z5emptyiPd.numbered_sgpr, 0
	.set _Z5emptyiPd.num_named_barrier, 0
	.set _Z5emptyiPd.private_seg_size, 0
	.set _Z5emptyiPd.uses_vcc, 0
	.set _Z5emptyiPd.uses_flat_scratch, 0
	.set _Z5emptyiPd.has_dyn_sized_stack, 0
	.set _Z5emptyiPd.has_recursion, 0
	.set _Z5emptyiPd.has_indirect_call, 0
	.section	.AMDGPU.csdata,"",@progbits
; Kernel info:
; codeLenInByte = 4
; TotalNumSgprs: 4
; NumVgprs: 0
; ScratchSize: 0
; MemoryBound: 0
; FloatMode: 240
; IeeeMode: 1
; LDSByteSize: 0 bytes/workgroup (compile time only)
; SGPRBlocks: 0
; VGPRBlocks: 0
; NumSGPRsForWavesPerEU: 4
; NumVGPRsForWavesPerEU: 1
; Occupancy: 10
; WaveLimiterHint : 0
; COMPUTE_PGM_RSRC2:SCRATCH_EN: 0
; COMPUTE_PGM_RSRC2:USER_SGPR: 6
; COMPUTE_PGM_RSRC2:TRAP_HANDLER: 0
; COMPUTE_PGM_RSRC2:TGID_X_EN: 1
; COMPUTE_PGM_RSRC2:TGID_Y_EN: 0
; COMPUTE_PGM_RSRC2:TGID_Z_EN: 0
; COMPUTE_PGM_RSRC2:TIDIG_COMP_CNT: 0
	.text
	.protected	_Z9vgprboundiPd         ; -- Begin function _Z9vgprboundiPd
	.globl	_Z9vgprboundiPd
	.p2align	8
	.type	_Z9vgprboundiPd,@function
_Z9vgprboundiPd:                        ; @_Z9vgprboundiPd
; %bb.0:
	s_load_dword s17, s[4:5], 0x0
	s_load_dwordx2 s[0:1], s[4:5], 0x8
	v_lshlrev_b32_e32 v1, 3, v0
	s_mov_b32 s12, 0x55555555
	s_mov_b32 s20, 0x47e6c9c2
	s_waitcnt lgkmcnt(0)
	v_mul_lo_u32 v0, s17, v0
	global_load_dwordx2 v[36:37], v1, s[0:1]
	v_add_co_u32_e32 v32, vcc, s0, v1
	v_cvt_f64_u32_e32 v[0:1], v0
	v_mov_b32_e32 v2, s1
	v_addc_co_u32_e32 v33, vcc, 0, v2, vcc
	v_mbcnt_lo_u32_b32 v2, -1, 0
	v_mbcnt_hi_u32_b32 v2, -1, v2
	v_and_b32_e32 v52, 64, v2
	s_mov_b32 s22, 0xcfa74449
	s_mov_b32 s24, 0x71bf3c30
	;; [unrolled: 1-line block ×31, first 2 shown]
	v_mov_b32_e32 v3, v1
	v_mov_b32_e32 v5, v1
	;; [unrolled: 1-line block ×15, first 2 shown]
	s_mov_b32 s33, 0
	s_mov_b32 s13, 0x3fe55555
	;; [unrolled: 1-line block ×3, first 2 shown]
	v_mov_b32_e32 v34, 0x968915a9
	v_mov_b32_e32 v35, 0x3fba6564
	s_mov_b32 s21, 0x3fc110ef
	s_mov_b32 s23, 0x3fc3b13b
	;; [unrolled: 1-line block ×12, first 2 shown]
	s_movk_i32 s74, 0x204
	s_mov_b32 s47, 0x7ff00000
	s_mov_b32 s49, 0x3ff71547
	v_mov_b32_e32 v38, 0xfca7ab0c
	v_mov_b32_e32 v39, 0x3e928af3
	s_mov_b32 s51, 0x3e5ade15
	s_mov_b32 s53, 0x3ec71dee
	;; [unrolled: 1-line block ×9, first 2 shown]
	s_brev_b32 s75, -2
	s_mov_b32 s69, 0xbff921fb
	s_mov_b32 s73, 0xbc91a626
	;; [unrolled: 1-line block ×5, first 2 shown]
	v_mov_b32_e32 v53, 0x3ff00000
	v_mov_b32_e32 v54, 0x7ff00000
	s_mov_b32 s83, 0xbf56c16c
	v_mov_b32_e32 v40, 0
	s_mov_b32 s85, 0x3de5e0b2
	;; [unrolled: 2-line block ×4, first 2 shown]
	v_mov_b32_e32 v55, 0x7ff80000
	v_mov_b32_e32 v56, 0x40100000
	;; [unrolled: 1-line block ×19, first 2 shown]
	s_mov_b32 s91, 0x3ff921fb
	s_mov_b32 s93, 0x3c91a626
	;; [unrolled: 1-line block ×4, first 2 shown]
	s_branch .LBB1_2
.LBB1_1:                                ;   in Loop: Header=BB1_2 Depth=1
	s_or_b64 exec, exec, s[0:1]
	v_mul_f64 v[58:59], v[48:49], v[48:49]
	s_mov_b32 s61, s71
	v_mul_f64 v[68:69], v[50:51], 0.5
	s_mov_b32 s15, s63
	s_movk_i32 s0, 0x1f8
	v_cmp_class_f64_e64 s[0:1], v[46:47], s0
	v_and_b32_e32 v41, 1, v57
	v_lshlrev_b32_e32 v46, 30, v57
	v_fma_f64 v[60:61], v[58:59], s[84:85], v[44:45]
	v_fma_f64 v[62:63], v[58:59], s[76:77], v[42:43]
	v_mul_f64 v[64:65], v[58:59], 0.5
	v_mul_f64 v[70:71], v[48:49], -v[58:59]
	v_cmp_eq_u32_e32 vcc, 0, v41
	v_xor_b32_e32 v46, v46, v47
	v_and_b32_e32 v46, 0x80000000, v46
	s_add_i32 s33, s33, 1
	v_fma_f64 v[60:61], v[58:59], v[60:61], s[86:87]
	v_fma_f64 v[62:63], v[58:59], v[62:63], s[78:79]
	v_add_f64 v[66:67], -v[64:65], 1.0
	s_cmpk_eq_i32 s33, 0x64
	v_fma_f64 v[60:61], v[58:59], v[60:61], s[88:89]
	v_fma_f64 v[62:63], v[58:59], v[62:63], s[80:81]
	v_add_f64 v[72:73], -v[66:67], 1.0
	v_fma_f64 v[60:61], v[58:59], v[60:61], s[60:61]
	v_fma_f64 v[62:63], v[58:59], v[62:63], s[82:83]
	v_add_f64 v[64:65], v[72:73], -v[64:65]
	v_fma_f64 v[60:61], v[70:71], v[60:61], v[68:69]
	v_mul_f64 v[68:69], v[58:59], v[58:59]
	v_fma_f64 v[62:63], v[58:59], v[62:63], s[14:15]
	v_fma_f64 v[64:65], v[48:49], -v[50:51], v[64:65]
	s_mov_b32 s15, 0xbfc55555
	v_fma_f64 v[50:51], v[58:59], v[60:61], -v[50:51]
	v_fma_f64 v[58:59], v[68:69], v[62:63], v[64:65]
	v_fma_f64 v[50:51], v[70:71], s[14:15], v[50:51]
	v_add_f64 v[58:59], v[66:67], v[58:59]
	v_add_f64 v[48:49], v[48:49], -v[50:51]
	v_cndmask_b32_e32 v47, v59, v49, vcc
	v_cndmask_b32_e32 v41, v58, v48, vcc
	v_xor_b32_e32 v47, v47, v46
	v_cndmask_b32_e64 v46, 0, v41, s[0:1]
	v_cndmask_b32_e64 v47, v55, v47, s[0:1]
	v_add_f64 v[36:37], v[36:37], v[46:47]
	s_set_gpr_idx_on s16, gpr_idx(DST)
	v_mov_b32_e32 v0, v36
	v_mov_b32_e32 v1, v37
	s_set_gpr_idx_off
	s_cbranch_scc1 .LBB1_6
.LBB1_2:                                ; =>This Inner Loop Header: Depth=1
	s_add_i32 s0, s33, -1
	s_bfe_i32 s1, s0, 0x80000
	s_bfe_u32 s1, s1, 0x4000b
	v_and_or_b32 v41, s33, 63, v52
	s_add_i32 s1, s0, s1
	v_lshlrev_b32_e32 v41, 2, v41
	s_and_b32 s1, s1, 0xf0
	s_waitcnt vmcnt(0)
	ds_bpermute_b32 v46, v41, v36
	ds_bpermute_b32 v47, v41, v37
	s_sub_i32 s0, s0, s1
	s_sext_i32_i8 s0, s0
	s_lshl_b32 s0, s0, 1
	s_set_gpr_idx_on s0, gpr_idx(SRC0)
	v_mov_b32_e32 v49, v1
	v_mov_b32_e32 v48, v0
	s_set_gpr_idx_off
	s_waitcnt lgkmcnt(0)
	v_mul_f64 v[46:47], v[48:49], v[46:47]
	s_and_b32 s0, s33, 15
	s_lshl_b32 s16, s0, 1
	s_set_gpr_idx_on s16, gpr_idx(SRC0)
	v_mov_b32_e32 v41, v0
	v_mov_b32_e32 v48, v1
	s_set_gpr_idx_off
	s_mov_b32 s0, 0x4222de17
	s_mov_b32 s1, 0x3fbdee67
	;; [unrolled: 1-line block ×3, first 2 shown]
	v_cmp_neq_f64_e32 vcc, 1.0, v[46:47]
	s_mov_b32 s3, 0xc090cc00
	v_cndmask_b32_e32 v49, v53, v48, vcc
	v_cndmask_b32_e32 v48, 0, v41, vcc
	v_cmp_neq_f64_e32 vcc, 0, v[48:49]
	v_cmp_neq_f64_e64 s[8:9], v[48:49], |v[48:49]|
	v_cndmask_b32_e32 v47, v53, v47, vcc
	v_cndmask_b32_e32 v46, 0, v46, vcc
	v_frexp_mant_f64_e64 v[50:51], |v[46:47]|
	v_cmp_lt_f64_e64 s[10:11], |v[46:47]|, 1.0
	v_cmp_class_f64_e64 s[18:19], v[46:47], s74
	v_cmp_gt_f64_e32 vcc, s[12:13], v[50:51]
	s_xor_b64 s[8:9], s[8:9], s[10:11]
	v_cmp_neq_f64_e64 s[10:11], |v[46:47]|, 1.0
	v_cndmask_b32_e64 v41, 0, 1, vcc
	v_ldexp_f64 v[50:51], v[50:51], v41
	v_frexp_exp_i32_f64_e32 v41, v[46:47]
	v_add_f64 v[57:58], v[50:51], 1.0
	v_add_f64 v[63:64], v[50:51], -1.0
	v_subbrev_co_u32_e32 v41, vcc, 0, v41, vcc
	v_rcp_f64_e32 v[59:60], v[57:58]
	v_add_f64 v[65:66], v[57:58], -1.0
	v_add_f64 v[50:51], v[50:51], -v[65:66]
	v_fma_f64 v[61:62], -v[57:58], v[59:60], 1.0
	v_fma_f64 v[59:60], v[61:62], v[59:60], v[59:60]
	v_fma_f64 v[61:62], -v[57:58], v[59:60], 1.0
	v_fma_f64 v[59:60], v[61:62], v[59:60], v[59:60]
	v_mul_f64 v[61:62], v[63:64], v[59:60]
	v_mul_f64 v[67:68], v[57:58], v[61:62]
	v_fma_f64 v[57:58], v[61:62], v[57:58], -v[67:68]
	v_fma_f64 v[50:51], v[61:62], v[50:51], v[57:58]
	v_add_f64 v[57:58], v[67:68], v[50:51]
	v_add_f64 v[65:66], v[63:64], -v[57:58]
	v_add_f64 v[67:68], v[57:58], -v[67:68]
	;; [unrolled: 1-line block ×5, first 2 shown]
	v_add_f64 v[50:51], v[50:51], v[57:58]
	v_add_f64 v[50:51], v[65:66], v[50:51]
	v_mul_f64 v[50:51], v[59:60], v[50:51]
	v_add_f64 v[57:58], v[61:62], v[50:51]
	v_add_f64 v[59:60], v[57:58], -v[61:62]
	v_mul_f64 v[61:62], v[57:58], v[57:58]
	v_add_f64 v[50:51], v[50:51], -v[59:60]
	v_fma_f64 v[59:60], v[57:58], v[57:58], -v[61:62]
	v_add_f64 v[63:64], v[50:51], v[50:51]
	v_fma_f64 v[59:60], v[57:58], v[63:64], v[59:60]
	v_add_f64 v[63:64], v[61:62], v[59:60]
	v_fma_f64 v[65:66], v[63:64], s[0:1], v[34:35]
	s_mov_b32 s0, 0x3abe935a
	s_mov_b32 s1, 0x3fbe25e4
	v_add_f64 v[61:62], v[63:64], -v[61:62]
	v_mul_f64 v[71:72], v[57:58], v[63:64]
	v_fma_f64 v[65:66], v[63:64], v[65:66], s[0:1]
	s_mov_b32 s0, 0
	s_mov_b32 s1, 0x40900000
	v_add_f64 v[59:60], v[59:60], -v[61:62]
	v_fma_f64 v[65:66], v[63:64], v[65:66], s[20:21]
	v_fma_f64 v[65:66], v[63:64], v[65:66], s[22:23]
	;; [unrolled: 1-line block ×6, first 2 shown]
	v_mul_f64 v[67:68], v[63:64], v[65:66]
	v_fma_f64 v[61:62], v[63:64], v[65:66], -v[67:68]
	v_fma_f64 v[61:62], v[59:60], v[65:66], v[61:62]
	v_add_f64 v[65:66], v[67:68], v[61:62]
	v_add_f64 v[69:70], v[65:66], s[12:13]
	v_add_f64 v[67:68], v[65:66], -v[67:68]
	v_add_f64 v[73:74], v[69:70], s[42:43]
	v_add_f64 v[61:62], v[61:62], -v[67:68]
	v_fma_f64 v[67:68], v[63:64], v[57:58], -v[71:72]
	v_add_f64 v[65:66], v[65:66], -v[73:74]
	v_add_f64 v[61:62], v[61:62], s[44:45]
	v_fma_f64 v[63:64], v[63:64], v[50:51], v[67:68]
	v_ldexp_f64 v[50:51], v[50:51], 1
	v_add_f64 v[61:62], v[61:62], v[65:66]
	v_fma_f64 v[59:60], v[59:60], v[57:58], v[63:64]
	v_ldexp_f64 v[57:58], v[57:58], 1
	v_add_f64 v[63:64], v[69:70], v[61:62]
	v_add_f64 v[65:66], v[71:72], v[59:60]
	v_add_f64 v[67:68], v[69:70], -v[63:64]
	v_mul_f64 v[69:70], v[65:66], v[63:64]
	v_add_f64 v[71:72], v[65:66], -v[71:72]
	v_add_f64 v[61:62], v[61:62], v[67:68]
	v_fma_f64 v[67:68], v[65:66], v[63:64], -v[69:70]
	v_add_f64 v[59:60], v[59:60], -v[71:72]
	v_fma_f64 v[61:62], v[65:66], v[61:62], v[67:68]
	v_cvt_f64_i32_e32 v[67:68], v41
	v_fma_f64 v[59:60], v[59:60], v[63:64], v[61:62]
	v_add_f64 v[61:62], v[69:70], v[59:60]
	v_add_f64 v[63:64], v[57:58], v[61:62]
	v_add_f64 v[65:66], v[61:62], -v[69:70]
	v_mul_f64 v[69:70], v[67:68], s[34:35]
	v_add_f64 v[57:58], v[63:64], -v[57:58]
	v_add_f64 v[59:60], v[59:60], -v[65:66]
	v_fma_f64 v[65:66], v[67:68], s[34:35], -v[69:70]
	v_add_f64 v[57:58], v[61:62], -v[57:58]
	v_add_f64 v[50:51], v[50:51], v[59:60]
	v_fma_f64 v[59:60], v[67:68], s[38:39], v[65:66]
	v_add_f64 v[50:51], v[50:51], v[57:58]
	v_add_f64 v[57:58], v[69:70], v[59:60]
	;; [unrolled: 1-line block ×3, first 2 shown]
	v_add_f64 v[69:70], v[57:58], -v[69:70]
	v_add_f64 v[65:66], v[57:58], v[61:62]
	v_add_f64 v[63:64], v[61:62], -v[63:64]
	v_add_f64 v[59:60], v[59:60], -v[69:70]
	;; [unrolled: 1-line block ×6, first 2 shown]
	v_add_f64 v[63:64], v[59:60], v[50:51]
	v_add_f64 v[57:58], v[57:58], -v[71:72]
	v_add_f64 v[57:58], v[61:62], v[57:58]
	v_add_f64 v[61:62], v[63:64], -v[59:60]
	;; [unrolled: 2-line block ×3, first 2 shown]
	v_add_f64 v[50:51], v[50:51], -v[61:62]
	v_add_f64 v[67:68], v[65:66], v[57:58]
	v_add_f64 v[59:60], v[59:60], -v[63:64]
	v_add_f64 v[61:62], v[67:68], -v[65:66]
	v_add_f64 v[50:51], v[50:51], v[59:60]
	v_add_f64 v[57:58], v[57:58], -v[61:62]
	v_add_f64 v[50:51], v[50:51], v[57:58]
	v_add_f64 v[57:58], v[67:68], v[50:51]
	v_add_f64 v[59:60], v[57:58], -v[67:68]
	v_mul_f64 v[61:62], v[48:49], v[57:58]
	v_add_f64 v[50:51], v[50:51], -v[59:60]
	v_fma_f64 v[57:58], v[48:49], v[57:58], -v[61:62]
	v_cmp_class_f64_e64 vcc, v[61:62], s74
	v_fma_f64 v[50:51], v[48:49], v[50:51], v[57:58]
	v_add_f64 v[57:58], v[61:62], v[50:51]
	v_cndmask_b32_e32 v60, v58, v62, vcc
	v_cndmask_b32_e32 v59, v57, v61, vcc
	v_mul_f64 v[63:64], v[59:60], s[48:49]
	v_add_f64 v[57:58], v[57:58], -v[61:62]
	v_cmp_neq_f64_e64 vcc, |v[59:60]|, s[46:47]
	v_cmp_nlt_f64_e64 s[0:1], s[0:1], v[59:60]
	v_cmp_ngt_f64_e64 s[2:3], s[2:3], v[59:60]
	v_rndne_f64_e32 v[63:64], v[63:64]
	v_add_f64 v[50:51], v[50:51], -v[57:58]
	v_trunc_f64_e32 v[57:58], v[48:49]
	v_fma_f64 v[65:66], v[63:64], s[36:37], v[59:60]
	v_cvt_i32_f64_e32 v41, v[63:64]
	v_cndmask_b32_e32 v51, 0, v51, vcc
	v_cndmask_b32_e32 v50, 0, v50, vcc
	s_and_b64 vcc, s[2:3], s[0:1]
	v_cmp_eq_f64_e64 s[6:7], v[57:58], v[48:49]
	v_fma_f64 v[65:66], v[63:64], s[40:41], v[65:66]
	v_mul_f64 v[63:64], v[48:49], 0.5
	v_fma_f64 v[67:68], v[65:66], s[50:51], v[38:39]
	v_trunc_f64_e32 v[59:60], v[63:64]
	v_fma_f64 v[67:68], v[65:66], v[67:68], s[52:53]
	v_fma_f64 v[67:68], v[65:66], v[67:68], s[54:55]
	;; [unrolled: 1-line block ×8, first 2 shown]
	v_fma_f64 v[67:68], v[65:66], v[67:68], 1.0
	v_fma_f64 v[65:66], v[65:66], v[67:68], 1.0
	v_ldexp_f64 v[61:62], v[65:66], v41
	v_cndmask_b32_e64 v41, v54, v62, s[0:1]
	v_cndmask_b32_e64 v62, 0, v41, s[2:3]
	v_cndmask_b32_e32 v61, 0, v61, vcc
	v_fma_f64 v[50:51], v[61:62], v[50:51], v[61:62]
	v_cmp_class_f64_e64 s[4:5], v[61:62], s74
	v_cmp_neq_f64_e64 s[2:3], v[59:60], v[63:64]
	v_cmp_gt_f64_e32 vcc, 0, v[48:49]
	v_cmp_eq_f64_e64 s[0:1], 0, v[46:47]
	v_cndmask_b32_e64 v41, v50, v61, s[4:5]
	v_cndmask_b32_e64 v50, v54, 0, s[8:9]
	v_cmp_gt_f64_e64 s[8:9], 0, v[46:47]
	v_cndmask_b32_e64 v51, v51, v62, s[4:5]
	v_cmp_class_f64_e64 s[4:5], v[48:49], s74
	v_cndmask_b32_e64 v57, 0, v41, s[6:7]
	s_and_b64 s[2:3], s[6:7], s[2:3]
	v_cndmask_b32_e64 v50, v53, v50, s[10:11]
	v_cndmask_b32_e64 v58, 0, v47, s[2:3]
	;; [unrolled: 1-line block ×4, first 2 shown]
	v_bfi_b32 v51, s75, v51, v57
	v_cndmask_b32_e64 v57, v55, v51, s[6:7]
	s_xor_b64 s[6:7], vcc, s[0:1]
	v_cndmask_b32_e64 v51, v51, v57, s[8:9]
	v_cndmask_b32_e64 v57, v54, 0, s[6:7]
	v_bfi_b32 v57, s75, v57, v58
	v_cndmask_b32_e64 v50, v51, v50, s[4:5]
	s_or_b64 vcc, s[0:1], s[18:19]
	v_cndmask_b32_e32 v50, v50, v57, vcc
	s_or_b64 s[0:1], vcc, s[4:5]
	v_cmp_o_f64_e32 vcc, v[46:47], v[48:49]
	v_cndmask_b32_e64 v41, v41, 0, s[0:1]
	s_mov_b32 s0, 0
	s_mov_b32 s1, 0x41d00000
                                        ; implicit-def: $vgpr57
                                        ; implicit-def: $vgpr48_vgpr49
	v_cndmask_b32_e32 v46, 0, v41, vcc
	v_cndmask_b32_e32 v47, v55, v50, vcc
	v_cmp_nlt_f64_e64 s[0:1], |v[46:47]|, s[0:1]
                                        ; implicit-def: $vgpr50_vgpr51
	s_and_saveexec_b64 s[2:3], s[0:1]
	s_xor_b64 s[2:3], exec, s[2:3]
	s_cbranch_execz .LBB1_4
; %bb.3:                                ;   in Loop: Header=BB1_2 Depth=1
	v_trig_preop_f64 v[48:49], |v[46:47]|, 0
	s_mov_b32 s0, 0
	s_movk_i32 s4, 0xff80
	s_mov_b32 s1, 0x7b000000
	v_ldexp_f64 v[57:58], |v[46:47]|, s4
	v_cmp_ge_f64_e64 vcc, |v[46:47]|, s[0:1]
	v_trig_preop_f64 v[50:51], |v[46:47]|, 1
	v_and_b32_e32 v41, 0x7fffffff, v47
	v_trig_preop_f64 v[65:66], |v[46:47]|, 2
	s_mov_b32 s90, s68
	s_mov_b32 s95, s93
	v_cndmask_b32_e32 v58, v41, v58, vcc
	v_cndmask_b32_e32 v57, v46, v57, vcc
	v_mul_f64 v[59:60], v[48:49], v[57:58]
	v_mul_f64 v[61:62], v[50:51], v[57:58]
	;; [unrolled: 1-line block ×3, first 2 shown]
	v_fma_f64 v[48:49], v[48:49], v[57:58], -v[59:60]
	v_fma_f64 v[50:51], v[50:51], v[57:58], -v[61:62]
	v_fma_f64 v[57:58], v[65:66], v[57:58], -v[71:72]
	v_add_f64 v[63:64], v[61:62], v[48:49]
	v_add_f64 v[67:68], v[63:64], -v[61:62]
	v_add_f64 v[73:74], v[59:60], v[63:64]
	v_add_f64 v[69:70], v[63:64], -v[67:68]
	v_add_f64 v[48:49], v[48:49], -v[67:68]
	v_add_f64 v[67:68], v[71:72], v[50:51]
	v_add_f64 v[59:60], v[73:74], -v[59:60]
	v_add_f64 v[61:62], v[61:62], -v[69:70]
	v_ldexp_f64 v[69:70], v[73:74], -2
	v_add_f64 v[75:76], v[67:68], -v[71:72]
	v_add_f64 v[59:60], v[63:64], -v[59:60]
	v_add_f64 v[48:49], v[48:49], v[61:62]
	v_fract_f64_e32 v[61:62], v[69:70]
	v_cmp_neq_f64_e64 vcc, |v[69:70]|, s[46:47]
	v_add_f64 v[50:51], v[50:51], -v[75:76]
	v_add_f64 v[63:64], v[67:68], v[48:49]
	v_ldexp_f64 v[61:62], v[61:62], 2
	v_add_f64 v[69:70], v[59:60], v[63:64]
	v_cndmask_b32_e32 v62, 0, v62, vcc
	v_cndmask_b32_e32 v61, 0, v61, vcc
	v_add_f64 v[77:78], v[63:64], -v[67:68]
	v_add_f64 v[73:74], v[69:70], v[61:62]
	v_add_f64 v[59:60], v[69:70], -v[59:60]
	v_add_f64 v[79:80], v[63:64], -v[77:78]
	;; [unrolled: 1-line block ×3, first 2 shown]
	v_cmp_gt_f64_e32 vcc, 0, v[73:74]
	v_add_f64 v[73:74], v[67:68], -v[75:76]
	v_add_f64 v[59:60], v[63:64], -v[59:60]
	;; [unrolled: 1-line block ×3, first 2 shown]
	v_cndmask_b32_e32 v41, 0, v56, vcc
	v_add_f64 v[61:62], v[61:62], v[40:41]
	v_add_f64 v[73:74], v[71:72], -v[73:74]
	v_add_f64 v[48:49], v[48:49], v[67:68]
	v_add_f64 v[81:82], v[69:70], v[61:62]
	;; [unrolled: 1-line block ×3, first 2 shown]
	v_cvt_i32_f64_e32 v41, v[81:82]
	v_add_f64 v[48:49], v[50:51], v[48:49]
	v_cvt_f64_i32_e32 v[75:76], v41
	v_add_f64 v[61:62], v[61:62], -v[75:76]
	v_add_f64 v[48:49], v[57:58], v[48:49]
	v_add_f64 v[50:51], v[69:70], v[61:62]
	;; [unrolled: 1-line block ×3, first 2 shown]
	v_add_f64 v[57:58], v[50:51], -v[61:62]
	v_cmp_le_f64_e32 vcc, 0.5, v[50:51]
	v_add_f64 v[58:59], v[69:70], -v[57:58]
	v_addc_co_u32_e64 v57, s[0:1], 0, v41, vcc
	v_cndmask_b32_e32 v41, 0, v53, vcc
	v_add_f64 v[50:51], v[50:51], -v[40:41]
	v_add_f64 v[48:49], v[48:49], v[58:59]
	v_add_f64 v[58:59], v[50:51], v[48:49]
	v_mul_f64 v[60:61], v[58:59], s[90:91]
	v_add_f64 v[50:51], v[58:59], -v[50:51]
	v_fma_f64 v[62:63], v[58:59], s[90:91], -v[60:61]
	v_add_f64 v[48:49], v[48:49], -v[50:51]
	v_fma_f64 v[50:51], v[58:59], s[94:95], v[62:63]
	v_fma_f64 v[50:51], v[48:49], s[90:91], v[50:51]
	v_add_f64 v[48:49], v[60:61], v[50:51]
	v_add_f64 v[58:59], v[48:49], -v[60:61]
	v_add_f64 v[50:51], v[50:51], -v[58:59]
.LBB1_4:                                ;   in Loop: Header=BB1_2 Depth=1
	s_andn2_saveexec_b64 s[0:1], s[2:3]
	s_cbranch_execz .LBB1_1
; %bb.5:                                ;   in Loop: Header=BB1_2 Depth=1
	s_mov_b32 s2, 0x6dc9c883
	s_mov_b32 s3, 0x3fe45f30
	v_mul_f64 v[48:49], |v[46:47]|, s[2:3]
	s_mov_b32 s92, s72
	s_mov_b32 s2, 0x252049c0
	;; [unrolled: 1-line block ×3, first 2 shown]
	v_rndne_f64_e32 v[57:58], v[48:49]
	v_fma_f64 v[48:49], v[57:58], s[68:69], |v[46:47]|
	v_mul_f64 v[50:51], v[57:58], s[72:73]
	v_fma_f64 v[63:64], v[57:58], s[72:73], v[48:49]
	v_add_f64 v[59:60], v[48:49], v[50:51]
	v_add_f64 v[61:62], v[48:49], -v[59:60]
	v_add_f64 v[59:60], v[59:60], -v[63:64]
	v_add_f64 v[48:49], v[61:62], v[50:51]
	v_fma_f64 v[50:51], v[57:58], s[92:93], v[50:51]
	v_add_f64 v[48:49], v[59:60], v[48:49]
	v_add_f64 v[48:49], v[48:49], -v[50:51]
	v_fma_f64 v[50:51], v[57:58], s[2:3], v[48:49]
	v_cvt_i32_f64_e32 v57, v[57:58]
	v_add_f64 v[48:49], v[63:64], v[50:51]
	v_add_f64 v[59:60], v[48:49], -v[63:64]
	v_add_f64 v[50:51], v[50:51], -v[59:60]
	s_branch .LBB1_1
.LBB1_6:
	v_cvt_f64_i32_e32 v[0:1], s17
	v_cmp_eq_f64_e32 vcc, v[36:37], v[0:1]
	s_and_saveexec_b64 s[0:1], vcc
	s_cbranch_execz .LBB1_8
; %bb.7:
	global_store_dwordx2 v[32:33], v[36:37], off
.LBB1_8:
	s_endpgm
	.section	.rodata,"a",@progbits
	.p2align	6, 0x0
	.amdhsa_kernel _Z9vgprboundiPd
		.amdhsa_group_segment_fixed_size 0
		.amdhsa_private_segment_fixed_size 0
		.amdhsa_kernarg_size 16
		.amdhsa_user_sgpr_count 6
		.amdhsa_user_sgpr_private_segment_buffer 1
		.amdhsa_user_sgpr_dispatch_ptr 0
		.amdhsa_user_sgpr_queue_ptr 0
		.amdhsa_user_sgpr_kernarg_segment_ptr 1
		.amdhsa_user_sgpr_dispatch_id 0
		.amdhsa_user_sgpr_flat_scratch_init 0
		.amdhsa_user_sgpr_private_segment_size 0
		.amdhsa_uses_dynamic_stack 0
		.amdhsa_system_sgpr_private_segment_wavefront_offset 0
		.amdhsa_system_sgpr_workgroup_id_x 1
		.amdhsa_system_sgpr_workgroup_id_y 0
		.amdhsa_system_sgpr_workgroup_id_z 0
		.amdhsa_system_sgpr_workgroup_info 0
		.amdhsa_system_vgpr_workitem_id 0
		.amdhsa_next_free_vgpr 83
		.amdhsa_next_free_sgpr 96
		.amdhsa_reserve_vcc 1
		.amdhsa_reserve_flat_scratch 0
		.amdhsa_float_round_mode_32 0
		.amdhsa_float_round_mode_16_64 0
		.amdhsa_float_denorm_mode_32 3
		.amdhsa_float_denorm_mode_16_64 3
		.amdhsa_dx10_clamp 1
		.amdhsa_ieee_mode 1
		.amdhsa_fp16_overflow 0
		.amdhsa_exception_fp_ieee_invalid_op 0
		.amdhsa_exception_fp_denorm_src 0
		.amdhsa_exception_fp_ieee_div_zero 0
		.amdhsa_exception_fp_ieee_overflow 0
		.amdhsa_exception_fp_ieee_underflow 0
		.amdhsa_exception_fp_ieee_inexact 0
		.amdhsa_exception_int_div_zero 0
	.end_amdhsa_kernel
	.text
.Lfunc_end1:
	.size	_Z9vgprboundiPd, .Lfunc_end1-_Z9vgprboundiPd
                                        ; -- End function
	.set _Z9vgprboundiPd.num_vgpr, 83
	.set _Z9vgprboundiPd.num_agpr, 0
	.set _Z9vgprboundiPd.numbered_sgpr, 96
	.set _Z9vgprboundiPd.num_named_barrier, 0
	.set _Z9vgprboundiPd.private_seg_size, 0
	.set _Z9vgprboundiPd.uses_vcc, 1
	.set _Z9vgprboundiPd.uses_flat_scratch, 0
	.set _Z9vgprboundiPd.has_dyn_sized_stack, 0
	.set _Z9vgprboundiPd.has_recursion, 0
	.set _Z9vgprboundiPd.has_indirect_call, 0
	.section	.AMDGPU.csdata,"",@progbits
; Kernel info:
; codeLenInByte = 3572
; TotalNumSgprs: 100
; NumVgprs: 83
; ScratchSize: 0
; MemoryBound: 0
; FloatMode: 240
; IeeeMode: 1
; LDSByteSize: 0 bytes/workgroup (compile time only)
; SGPRBlocks: 12
; VGPRBlocks: 20
; NumSGPRsForWavesPerEU: 100
; NumVGPRsForWavesPerEU: 83
; Occupancy: 3
; WaveLimiterHint : 0
; COMPUTE_PGM_RSRC2:SCRATCH_EN: 0
; COMPUTE_PGM_RSRC2:USER_SGPR: 6
; COMPUTE_PGM_RSRC2:TRAP_HANDLER: 0
; COMPUTE_PGM_RSRC2:TGID_X_EN: 1
; COMPUTE_PGM_RSRC2:TGID_Y_EN: 0
; COMPUTE_PGM_RSRC2:TGID_Z_EN: 0
; COMPUTE_PGM_RSRC2:TIDIG_COMP_CNT: 0
	.text
	.protected	_Z8ldsboundiPd          ; -- Begin function _Z8ldsboundiPd
	.globl	_Z8ldsboundiPd
	.p2align	8
	.type	_Z8ldsboundiPd,@function
_Z8ldsboundiPd:                         ; @_Z8ldsboundiPd
; %bb.0:
	s_load_dword s15, s[4:5], 0x0
	s_load_dword s0, s[4:5], 0x1c
	v_lshlrev_b32_e32 v21, 3, v0
	s_movk_i32 s2, 0x1fff
	v_mov_b32_e32 v3, v21
	s_waitcnt lgkmcnt(0)
	v_mul_lo_u32 v1, s15, v0
	s_and_b32 s33, s0, 0xffff
	s_lshl_b32 s74, s33, 3
	s_mov_b64 s[0:1], 0
	v_cvt_f64_u32_e32 v[1:2], v1
	v_mov_b32_e32 v4, v0
.LBB2_1:                                ; =>This Inner Loop Header: Depth=1
	v_add_u32_e32 v4, s33, v4
	v_cmp_lt_u32_e32 vcc, s2, v4
	ds_write_b64 v3, v[1:2]
	s_or_b64 s[0:1], vcc, s[0:1]
	v_add_u32_e32 v3, s74, v3
	s_andn2_b64 exec, exec, s[0:1]
	s_cbranch_execnz .LBB2_1
; %bb.2:
	s_or_b64 exec, exec, s[0:1]
	s_load_dwordx2 s[0:1], s[4:5], 0x8
	v_lshlrev_b32_e32 v3, 3, v0
	s_waitcnt lgkmcnt(0)
	s_barrier
	v_add_co_u32_e32 v1, vcc, s0, v3
	global_load_dwordx2 v[3:4], v3, s[0:1]
	v_mbcnt_lo_u32_b32 v6, -1, 0
	s_mov_b32 s70, 0x55555555
	s_mov_b32 s58, 0x11110bb3
	v_mov_b32_e32 v2, s1
	v_mbcnt_hi_u32_b32 v6, -1, v6
	s_mov_b32 s10, 0x55555555
	s_mov_b32 s71, 0x3fa55555
	;; [unrolled: 1-line block ×32, first 2 shown]
	v_mov_b32_e32 v5, 0
	v_addc_co_u32_e32 v2, vcc, 0, v2, vcc
	v_and_b32_e32 v22, 64, v6
	s_mov_b64 s[8:9], 0
	v_mov_b32_e32 v23, 0x3ff00000
	s_mov_b32 s11, 0x3fe55555
	v_mov_b32_e32 v7, 0x968915a9
	v_mov_b32_e32 v8, 0x3fba6564
	s_mov_b32 s17, 0x3fbe25e4
	s_mov_b32 s19, 0x3fc110ef
	;; [unrolled: 1-line block ×11, first 2 shown]
	s_movk_i32 s75, 0x204
	s_mov_b32 s41, 0x7ff00000
	s_mov_b32 s43, 0x3ff71547
	s_mov_b32 s45, 0xbfe62e42
	s_mov_b32 s44, s30
	s_mov_b32 s47, 0xbc7abc9e
	s_mov_b32 s46, s34
	v_mov_b32_e32 v9, 0xfca7ab0c
	v_mov_b32_e32 v10, 0x3e928af3
	s_mov_b32 s49, 0x3e5ade15
	s_mov_b32 s51, 0x3ec71dee
	;; [unrolled: 1-line block ×11, first 2 shown]
	v_mov_b32_e32 v24, 0x7ff00000
	s_brev_b32 s14, -2
	v_mov_b32_e32 v25, 0x7ff80000
	s_mov_b32 s69, 0xbff921fb
	s_mov_b32 s73, 0xbc91a626
	;; [unrolled: 1-line block ×9, first 2 shown]
	v_mov_b32_e32 v26, 0x40100000
	v_mov_b32_e32 v11, 0x9037ab78
	;; [unrolled: 1-line block ×5, first 2 shown]
	s_mov_b32 s91, 0x3ff921fb
	s_mov_b32 s93, 0x3c91a626
	;; [unrolled: 1-line block ×4, first 2 shown]
	s_branch .LBB2_4
.LBB2_3:                                ;   in Loop: Header=BB2_4 Depth=1
	s_or_b64 exec, exec, s[0:1]
	v_mul_f64 v[28:29], v[17:18], v[17:18]
	s_mov_b32 s12, s70
	v_and_b32_e32 v6, 1, v27
	v_cmp_eq_u32_e32 vcc, 0, v6
	s_movk_i32 s0, 0x1f8
	v_add_u32_e32 v0, s33, v0
	s_barrier
	v_mul_f64 v[30:31], v[28:29], 0.5
	v_fma_f64 v[36:37], v[28:29], s[76:77], v[11:12]
	v_add_f64 v[32:33], -v[30:31], 1.0
	v_fma_f64 v[36:37], v[28:29], v[36:37], s[78:79]
	v_add_f64 v[34:35], -v[32:33], 1.0
	v_fma_f64 v[36:37], v[28:29], v[36:37], s[80:81]
	v_add_f64 v[30:31], v[34:35], -v[30:31]
	v_fma_f64 v[36:37], v[28:29], v[36:37], s[82:83]
	v_mul_f64 v[34:35], v[28:29], v[28:29]
	v_fma_f64 v[30:31], v[17:18], -v[19:20], v[30:31]
	v_fma_f64 v[36:37], v[28:29], v[36:37], s[70:71]
	v_fma_f64 v[30:31], v[34:35], v[36:37], v[30:31]
	v_mul_f64 v[34:35], v[17:18], -v[28:29]
	v_mul_f64 v[36:37], v[19:20], 0.5
	v_add_f64 v[30:31], v[32:33], v[30:31]
	v_fma_f64 v[32:33], v[28:29], s[84:85], v[13:14]
	v_fma_f64 v[32:33], v[28:29], v[32:33], s[86:87]
	;; [unrolled: 1-line block ×5, first 2 shown]
	v_fma_f64 v[19:20], v[28:29], v[32:33], -v[19:20]
	v_fma_f64 v[19:20], v[34:35], s[12:13], v[19:20]
	v_add_f64 v[17:18], v[17:18], -v[19:20]
	v_cndmask_b32_e32 v6, v30, v17, vcc
	v_cndmask_b32_e32 v17, v31, v18, vcc
	v_cmp_class_f64_e64 vcc, v[15:16], s0
	v_lshlrev_b32_e32 v18, 30, v27
	v_xor_b32_e32 v18, v18, v16
	v_and_b32_e32 v18, 0x80000000, v18
	v_xor_b32_e32 v17, v17, v18
	s_movk_i32 s0, 0x1fff
	v_cndmask_b32_e32 v15, 0, v6, vcc
	v_cndmask_b32_e32 v16, v25, v17, vcc
	v_add_f64 v[3:4], v[3:4], v[15:16]
	v_cmp_lt_u32_e32 vcc, s0, v0
	s_or_b64 s[8:9], vcc, s[8:9]
	ds_write_b64 v21, v[3:4]
	v_add_u32_e32 v21, s74, v21
	s_andn2_b64 exec, exec, s[8:9]
	s_cbranch_execz .LBB2_8
.LBB2_4:                                ; =>This Inner Loop Header: Depth=1
	v_and_or_b32 v6, v0, 63, v22
	v_lshlrev_b32_e32 v6, 2, v6
	s_waitcnt vmcnt(0)
	ds_bpermute_b32 v15, v6, v3
	ds_bpermute_b32 v16, v6, v4
	v_add_u32_e32 v6, -1, v0
	v_and_b32_e32 v6, 0x1fff, v6
	v_lshlrev_b32_e32 v6, 3, v6
	ds_read_b64 v[17:18], v6
	s_mov_b32 s0, 0x4222de17
	s_mov_b32 s1, 0x3fbdee67
	s_waitcnt lgkmcnt(0)
	v_mul_f64 v[17:18], v[17:18], v[15:16]
	ds_read_b64 v[15:16], v21
	v_cmp_neq_f64_e32 vcc, 1.0, v[17:18]
	s_waitcnt lgkmcnt(0)
	v_cndmask_b32_e32 v16, v23, v16, vcc
	v_cndmask_b32_e32 v15, 0, v15, vcc
	v_cmp_neq_f64_e32 vcc, 0, v[15:16]
	v_cmp_gt_f64_e64 s[6:7], 0, v[15:16]
	v_cndmask_b32_e32 v18, v23, v18, vcc
	v_cndmask_b32_e32 v17, 0, v17, vcc
	v_frexp_mant_f64_e64 v[19:20], |v[17:18]|
	v_frexp_exp_i32_f64_e32 v6, v[17:18]
	v_cmp_gt_f64_e64 s[2:3], 0, v[17:18]
	v_cmp_lt_f64_e64 s[4:5], |v[17:18]|, 1.0
	v_cmp_gt_f64_e32 vcc, s[10:11], v[19:20]
	v_cndmask_b32_e64 v27, 0, 1, vcc
	v_ldexp_f64 v[19:20], v[19:20], v27
	v_subbrev_co_u32_e32 v6, vcc, 0, v6, vcc
	v_add_f64 v[29:30], v[19:20], 1.0
	v_add_f64 v[27:28], v[19:20], -1.0
	v_add_f64 v[31:32], v[29:30], -1.0
	v_add_f64 v[19:20], v[19:20], -v[31:32]
	v_rcp_f64_e32 v[31:32], v[29:30]
	v_fma_f64 v[33:34], -v[29:30], v[31:32], 1.0
	v_fma_f64 v[31:32], v[33:34], v[31:32], v[31:32]
	v_fma_f64 v[33:34], -v[29:30], v[31:32], 1.0
	v_fma_f64 v[31:32], v[33:34], v[31:32], v[31:32]
	v_mul_f64 v[33:34], v[27:28], v[31:32]
	v_mul_f64 v[35:36], v[29:30], v[33:34]
	v_fma_f64 v[29:30], v[33:34], v[29:30], -v[35:36]
	v_fma_f64 v[19:20], v[33:34], v[19:20], v[29:30]
	v_add_f64 v[29:30], v[35:36], v[19:20]
	v_add_f64 v[37:38], v[27:28], -v[29:30]
	v_add_f64 v[35:36], v[29:30], -v[35:36]
	;; [unrolled: 1-line block ×4, first 2 shown]
	v_cvt_f64_i32_e32 v[35:36], v6
	v_add_f64 v[27:28], v[27:28], -v[29:30]
	v_add_f64 v[19:20], v[19:20], v[27:28]
	v_add_f64 v[19:20], v[37:38], v[19:20]
	v_mul_f64 v[37:38], v[35:36], s[30:31]
	v_mul_f64 v[19:20], v[31:32], v[19:20]
	v_fma_f64 v[39:40], v[35:36], s[30:31], -v[37:38]
	v_add_f64 v[27:28], v[33:34], v[19:20]
	v_fma_f64 v[35:36], v[35:36], s[34:35], v[39:40]
	v_add_f64 v[29:30], v[27:28], -v[33:34]
	v_add_f64 v[39:40], v[37:38], v[35:36]
	v_add_f64 v[19:20], v[19:20], -v[29:30]
	v_mul_f64 v[29:30], v[27:28], v[27:28]
	v_add_f64 v[37:38], v[39:40], -v[37:38]
	v_add_f64 v[33:34], v[19:20], v[19:20]
	v_fma_f64 v[31:32], v[27:28], v[27:28], -v[29:30]
	v_ldexp_f64 v[41:42], v[19:20], 1
	v_add_f64 v[35:36], v[35:36], -v[37:38]
	v_ldexp_f64 v[37:38], v[27:28], 1
	v_fma_f64 v[31:32], v[27:28], v[33:34], v[31:32]
	v_add_f64 v[33:34], v[29:30], v[31:32]
	v_add_f64 v[29:30], v[33:34], -v[29:30]
	v_mul_f64 v[43:44], v[27:28], v[33:34]
	v_add_f64 v[29:30], v[31:32], -v[29:30]
	v_fma_f64 v[31:32], v[33:34], s[0:1], v[7:8]
	v_fma_f64 v[45:46], v[33:34], v[27:28], -v[43:44]
	s_mov_b32 s0, 0
	s_mov_b32 s1, 0x40900000
	v_fma_f64 v[31:32], v[33:34], v[31:32], s[16:17]
	v_fma_f64 v[19:20], v[33:34], v[19:20], v[45:46]
	;; [unrolled: 1-line block ×5, first 2 shown]
	v_add_f64 v[27:28], v[43:44], v[19:20]
	v_fma_f64 v[31:32], v[33:34], v[31:32], s[22:23]
	v_add_f64 v[43:44], v[27:28], -v[43:44]
	v_fma_f64 v[31:32], v[33:34], v[31:32], s[24:25]
	v_add_f64 v[19:20], v[19:20], -v[43:44]
	v_fma_f64 v[31:32], v[33:34], v[31:32], s[26:27]
	v_fma_f64 v[31:32], v[33:34], v[31:32], s[28:29]
	v_mul_f64 v[43:44], v[33:34], v[31:32]
	v_fma_f64 v[33:34], v[33:34], v[31:32], -v[43:44]
	v_fma_f64 v[29:30], v[29:30], v[31:32], v[33:34]
	v_add_f64 v[31:32], v[43:44], v[29:30]
	v_add_f64 v[33:34], v[31:32], -v[43:44]
	v_add_f64 v[29:30], v[29:30], -v[33:34]
	v_add_f64 v[33:34], v[31:32], s[10:11]
	v_add_f64 v[29:30], v[29:30], s[38:39]
	;; [unrolled: 1-line block ×3, first 2 shown]
	v_add_f64 v[31:32], v[31:32], -v[43:44]
	v_add_f64 v[29:30], v[29:30], v[31:32]
	v_add_f64 v[31:32], v[33:34], v[29:30]
	v_add_f64 v[33:34], v[33:34], -v[31:32]
	v_add_f64 v[29:30], v[29:30], v[33:34]
	v_mul_f64 v[33:34], v[27:28], v[31:32]
	v_fma_f64 v[43:44], v[27:28], v[31:32], -v[33:34]
	v_fma_f64 v[27:28], v[27:28], v[29:30], v[43:44]
	v_fma_f64 v[19:20], v[19:20], v[31:32], v[27:28]
	v_add_f64 v[27:28], v[33:34], v[19:20]
	v_add_f64 v[29:30], v[27:28], -v[33:34]
	v_add_f64 v[19:20], v[19:20], -v[29:30]
	v_add_f64 v[29:30], v[37:38], v[27:28]
	v_add_f64 v[19:20], v[41:42], v[19:20]
	v_add_f64 v[31:32], v[29:30], -v[37:38]
	v_add_f64 v[27:28], v[27:28], -v[31:32]
	v_add_f64 v[19:20], v[19:20], v[27:28]
	;; [unrolled: 4-line block ×3, first 2 shown]
	v_add_f64 v[31:32], v[29:30], -v[39:40]
	v_add_f64 v[33:34], v[29:30], -v[31:32]
	;; [unrolled: 1-line block ×3, first 2 shown]
	v_add_f64 v[31:32], v[35:36], v[19:20]
	v_add_f64 v[33:34], v[39:40], -v[33:34]
	v_add_f64 v[27:28], v[27:28], v[33:34]
	v_add_f64 v[33:34], v[31:32], -v[35:36]
	;; [unrolled: 2-line block ×3, first 2 shown]
	v_add_f64 v[19:20], v[19:20], -v[33:34]
	v_add_f64 v[31:32], v[29:30], v[27:28]
	v_add_f64 v[35:36], v[35:36], -v[37:38]
	v_add_f64 v[29:30], v[31:32], -v[29:30]
	v_add_f64 v[19:20], v[19:20], v[35:36]
	v_add_f64 v[27:28], v[27:28], -v[29:30]
	v_add_f64 v[19:20], v[19:20], v[27:28]
	v_add_f64 v[27:28], v[31:32], v[19:20]
	v_add_f64 v[29:30], v[27:28], -v[31:32]
	v_add_f64 v[19:20], v[19:20], -v[29:30]
	v_mul_f64 v[29:30], v[15:16], v[27:28]
	v_fma_f64 v[27:28], v[15:16], v[27:28], -v[29:30]
	v_cmp_class_f64_e64 vcc, v[29:30], s75
	v_fma_f64 v[19:20], v[15:16], v[19:20], v[27:28]
	v_add_f64 v[27:28], v[29:30], v[19:20]
	v_add_f64 v[31:32], v[27:28], -v[29:30]
	v_cndmask_b32_e32 v28, v28, v30, vcc
	v_cndmask_b32_e32 v27, v27, v29, vcc
	v_mul_f64 v[29:30], v[27:28], s[42:43]
	v_cmp_neq_f64_e64 vcc, |v[27:28]|, s[40:41]
	v_add_f64 v[19:20], v[19:20], -v[31:32]
	v_rndne_f64_e32 v[29:30], v[29:30]
	v_cndmask_b32_e32 v20, 0, v20, vcc
	v_cndmask_b32_e32 v19, 0, v19, vcc
	v_cmp_nlt_f64_e32 vcc, s[0:1], v[27:28]
	v_fma_f64 v[31:32], v[29:30], s[44:45], v[27:28]
	v_cvt_i32_f64_e32 v6, v[29:30]
	s_mov_b32 s0, 0
	s_mov_b32 s1, 0xc090cc00
	v_cmp_ngt_f64_e64 s[0:1], s[0:1], v[27:28]
	v_fma_f64 v[31:32], v[29:30], s[46:47], v[31:32]
	v_fma_f64 v[33:34], v[31:32], s[48:49], v[9:10]
	;; [unrolled: 1-line block ×10, first 2 shown]
	v_fma_f64 v[33:34], v[31:32], v[33:34], 1.0
	v_fma_f64 v[31:32], v[31:32], v[33:34], 1.0
	v_ldexp_f64 v[29:30], v[31:32], v6
	v_cndmask_b32_e32 v6, v24, v30, vcc
	s_and_b64 vcc, s[0:1], vcc
	v_cndmask_b32_e32 v27, 0, v29, vcc
	v_cndmask_b32_e64 v28, 0, v6, s[0:1]
	v_fma_f64 v[19:20], v[27:28], v[19:20], v[27:28]
	v_cmp_class_f64_e64 vcc, v[27:28], s75
	v_cndmask_b32_e32 v6, v19, v27, vcc
	v_cndmask_b32_e32 v29, v20, v28, vcc
	v_trunc_f64_e32 v[19:20], v[15:16]
	v_cmp_eq_f64_e64 s[0:1], v[19:20], v[15:16]
	v_mul_f64 v[19:20], v[15:16], 0.5
	v_trunc_f64_e32 v[27:28], v[19:20]
	v_cmp_neq_f64_e32 vcc, v[27:28], v[19:20]
	v_cndmask_b32_e64 v27, 0, v6, s[0:1]
	v_cndmask_b32_e64 v6, v6, v27, s[2:3]
	s_and_b64 vcc, s[0:1], vcc
	v_cndmask_b32_e32 v19, v23, v18, vcc
	v_bfi_b32 v19, s14, v29, v19
	v_cndmask_b32_e64 v20, v25, v19, s[0:1]
	v_cndmask_b32_e64 v19, v19, v20, s[2:3]
	v_cmp_neq_f64_e64 s[2:3], v[15:16], |v[15:16]|
	v_cmp_class_f64_e64 s[0:1], v[15:16], s75
	v_cndmask_b32_e32 v27, 0, v18, vcc
	v_cmp_o_f64_e32 vcc, v[17:18], v[15:16]
	s_xor_b64 s[2:3], s[2:3], s[4:5]
	v_cndmask_b32_e64 v20, v24, 0, s[2:3]
	v_cmp_neq_f64_e64 s[2:3], |v[17:18]|, 1.0
	v_cmp_class_f64_e64 s[4:5], v[17:18], s75
	v_cndmask_b32_e64 v20, v23, v20, s[2:3]
	v_cmp_eq_f64_e64 s[2:3], 0, v[17:18]
	v_cndmask_b32_e64 v19, v19, v20, s[0:1]
                                        ; implicit-def: $vgpr17_vgpr18
	s_or_b64 s[4:5], s[2:3], s[4:5]
	s_xor_b64 s[2:3], s[6:7], s[2:3]
	v_cndmask_b32_e64 v20, v24, 0, s[2:3]
	v_bfi_b32 v20, s14, v20, v27
	s_or_b64 s[0:1], s[4:5], s[0:1]
	v_cndmask_b32_e64 v19, v19, v20, s[4:5]
	v_cndmask_b32_e64 v6, v6, 0, s[0:1]
	s_mov_b32 s0, 0
	v_cndmask_b32_e32 v15, 0, v6, vcc
	v_cndmask_b32_e32 v16, v25, v19, vcc
	s_mov_b32 s1, 0x41d00000
	v_cmp_nlt_f64_e64 s[0:1], |v[15:16]|, s[0:1]
                                        ; implicit-def: $vgpr27
                                        ; implicit-def: $vgpr19_vgpr20
	s_and_saveexec_b64 s[2:3], s[0:1]
	s_xor_b64 s[2:3], exec, s[2:3]
	s_cbranch_execz .LBB2_6
; %bb.5:                                ;   in Loop: Header=BB2_4 Depth=1
	v_trig_preop_f64 v[17:18], |v[15:16]|, 0
	s_mov_b32 s0, 0
	s_mov_b32 s1, 0x7b000000
	v_cmp_ge_f64_e64 vcc, |v[15:16]|, s[0:1]
	s_movk_i32 s0, 0xff80
	v_ldexp_f64 v[27:28], |v[15:16]|, s0
	v_trig_preop_f64 v[19:20], |v[15:16]|, 1
	v_and_b32_e32 v6, 0x7fffffff, v16
	s_mov_b32 s90, s68
	s_mov_b32 s95, s93
	v_cndmask_b32_e32 v28, v6, v28, vcc
	v_cndmask_b32_e32 v27, v15, v27, vcc
	v_mul_f64 v[31:32], v[17:18], v[27:28]
	v_mul_f64 v[29:30], v[19:20], v[27:28]
	v_fma_f64 v[17:18], v[17:18], v[27:28], -v[31:32]
	v_fma_f64 v[19:20], v[19:20], v[27:28], -v[29:30]
	v_add_f64 v[33:34], v[29:30], v[17:18]
	v_add_f64 v[41:42], v[33:34], -v[29:30]
	v_add_f64 v[35:36], v[31:32], v[33:34]
	v_add_f64 v[17:18], v[17:18], -v[41:42]
	v_add_f64 v[41:42], v[33:34], -v[41:42]
	v_ldexp_f64 v[37:38], v[35:36], -2
	v_add_f64 v[31:32], v[35:36], -v[31:32]
	v_add_f64 v[41:42], v[29:30], -v[41:42]
	v_trig_preop_f64 v[29:30], |v[15:16]|, 2
	v_fract_f64_e32 v[39:40], v[37:38]
	v_add_f64 v[31:32], v[33:34], -v[31:32]
	v_cmp_neq_f64_e64 vcc, |v[37:38]|, s[40:41]
	v_add_f64 v[17:18], v[17:18], v[41:42]
	v_mul_f64 v[41:42], v[29:30], v[27:28]
	v_add_f64 v[43:44], v[41:42], v[19:20]
	v_add_f64 v[45:46], v[43:44], v[17:18]
	v_add_f64 v[35:36], v[45:46], -v[43:44]
	v_add_f64 v[33:34], v[31:32], v[45:46]
	v_add_f64 v[17:18], v[17:18], -v[35:36]
	v_add_f64 v[35:36], v[45:46], -v[35:36]
	;; [unrolled: 1-line block ×5, first 2 shown]
	v_add_f64 v[17:18], v[17:18], v[35:36]
	v_add_f64 v[35:36], v[43:44], -v[41:42]
	v_add_f64 v[19:20], v[19:20], -v[35:36]
	;; [unrolled: 1-line block ×4, first 2 shown]
	v_add_f64 v[19:20], v[19:20], v[35:36]
	v_add_f64 v[17:18], v[19:20], v[17:18]
	v_fma_f64 v[19:20], v[29:30], v[27:28], -v[41:42]
	v_add_f64 v[17:18], v[19:20], v[17:18]
	v_ldexp_f64 v[19:20], v[39:40], 2
	v_add_f64 v[17:18], v[31:32], v[17:18]
	v_cndmask_b32_e32 v20, 0, v20, vcc
	v_cndmask_b32_e32 v19, 0, v19, vcc
	v_add_f64 v[27:28], v[33:34], v[19:20]
	v_cmp_gt_f64_e32 vcc, 0, v[27:28]
	v_cndmask_b32_e32 v6, 0, v26, vcc
	v_add_f64 v[19:20], v[19:20], v[5:6]
	v_add_f64 v[27:28], v[33:34], v[19:20]
	v_cvt_i32_f64_e32 v6, v[27:28]
	v_cvt_f64_i32_e32 v[27:28], v6
	v_add_f64 v[19:20], v[19:20], -v[27:28]
	v_add_f64 v[28:29], v[33:34], v[19:20]
	v_add_f64 v[19:20], v[28:29], -v[19:20]
	v_cmp_le_f64_e32 vcc, 0.5, v[28:29]
	v_add_f64 v[19:20], v[33:34], -v[19:20]
	v_addc_co_u32_e64 v27, s[0:1], 0, v6, vcc
	v_cndmask_b32_e32 v6, 0, v23, vcc
	v_add_f64 v[17:18], v[17:18], v[19:20]
	v_add_f64 v[19:20], v[28:29], -v[5:6]
	v_add_f64 v[28:29], v[19:20], v[17:18]
	v_add_f64 v[19:20], v[28:29], -v[19:20]
	v_add_f64 v[17:18], v[17:18], -v[19:20]
	v_mul_f64 v[19:20], v[28:29], s[90:91]
	v_fma_f64 v[30:31], v[28:29], s[90:91], -v[19:20]
	v_fma_f64 v[28:29], v[28:29], s[94:95], v[30:31]
	v_fma_f64 v[28:29], v[17:18], s[90:91], v[28:29]
	v_add_f64 v[17:18], v[19:20], v[28:29]
	v_add_f64 v[19:20], v[17:18], -v[19:20]
	v_add_f64 v[19:20], v[28:29], -v[19:20]
.LBB2_6:                                ;   in Loop: Header=BB2_4 Depth=1
	s_andn2_saveexec_b64 s[0:1], s[2:3]
	s_cbranch_execz .LBB2_3
; %bb.7:                                ;   in Loop: Header=BB2_4 Depth=1
	s_mov_b32 s2, 0x6dc9c883
	s_mov_b32 s3, 0x3fe45f30
	v_mul_f64 v[17:18], |v[15:16]|, s[2:3]
	s_mov_b32 s92, s72
	s_mov_b32 s2, 0x252049c0
	;; [unrolled: 1-line block ×3, first 2 shown]
	v_rndne_f64_e32 v[27:28], v[17:18]
	v_fma_f64 v[17:18], v[27:28], s[68:69], |v[15:16]|
	v_mul_f64 v[19:20], v[27:28], s[72:73]
	v_fma_f64 v[33:34], v[27:28], s[72:73], v[17:18]
	v_add_f64 v[29:30], v[17:18], v[19:20]
	v_add_f64 v[31:32], v[17:18], -v[29:30]
	v_add_f64 v[29:30], v[29:30], -v[33:34]
	v_add_f64 v[17:18], v[31:32], v[19:20]
	v_fma_f64 v[19:20], v[27:28], s[92:93], v[19:20]
	v_add_f64 v[17:18], v[29:30], v[17:18]
	v_add_f64 v[17:18], v[17:18], -v[19:20]
	v_fma_f64 v[19:20], v[27:28], s[2:3], v[17:18]
	v_cvt_i32_f64_e32 v27, v[27:28]
	v_add_f64 v[17:18], v[33:34], v[19:20]
	v_add_f64 v[29:30], v[17:18], -v[33:34]
	v_add_f64 v[19:20], v[19:20], -v[29:30]
	s_branch .LBB2_3
.LBB2_8:
	s_or_b64 exec, exec, s[8:9]
	v_cvt_f64_i32_e32 v[5:6], s15
	v_cmp_eq_f64_e32 vcc, v[3:4], v[5:6]
	s_and_saveexec_b64 s[0:1], vcc
	s_cbranch_execz .LBB2_10
; %bb.9:
	global_store_dwordx2 v[1:2], v[3:4], off
.LBB2_10:
	s_endpgm
	.section	.rodata,"a",@progbits
	.p2align	6, 0x0
	.amdhsa_kernel _Z8ldsboundiPd
		.amdhsa_group_segment_fixed_size 65536
		.amdhsa_private_segment_fixed_size 0
		.amdhsa_kernarg_size 272
		.amdhsa_user_sgpr_count 6
		.amdhsa_user_sgpr_private_segment_buffer 1
		.amdhsa_user_sgpr_dispatch_ptr 0
		.amdhsa_user_sgpr_queue_ptr 0
		.amdhsa_user_sgpr_kernarg_segment_ptr 1
		.amdhsa_user_sgpr_dispatch_id 0
		.amdhsa_user_sgpr_flat_scratch_init 0
		.amdhsa_user_sgpr_private_segment_size 0
		.amdhsa_uses_dynamic_stack 0
		.amdhsa_system_sgpr_private_segment_wavefront_offset 0
		.amdhsa_system_sgpr_workgroup_id_x 1
		.amdhsa_system_sgpr_workgroup_id_y 0
		.amdhsa_system_sgpr_workgroup_id_z 0
		.amdhsa_system_sgpr_workgroup_info 0
		.amdhsa_system_vgpr_workitem_id 0
		.amdhsa_next_free_vgpr 129
		.amdhsa_next_free_sgpr 98
		.amdhsa_reserve_vcc 1
		.amdhsa_reserve_flat_scratch 0
		.amdhsa_float_round_mode_32 0
		.amdhsa_float_round_mode_16_64 0
		.amdhsa_float_denorm_mode_32 3
		.amdhsa_float_denorm_mode_16_64 3
		.amdhsa_dx10_clamp 1
		.amdhsa_ieee_mode 1
		.amdhsa_fp16_overflow 0
		.amdhsa_exception_fp_ieee_invalid_op 0
		.amdhsa_exception_fp_denorm_src 0
		.amdhsa_exception_fp_ieee_div_zero 0
		.amdhsa_exception_fp_ieee_overflow 0
		.amdhsa_exception_fp_ieee_underflow 0
		.amdhsa_exception_fp_ieee_inexact 0
		.amdhsa_exception_int_div_zero 0
	.end_amdhsa_kernel
	.text
.Lfunc_end2:
	.size	_Z8ldsboundiPd, .Lfunc_end2-_Z8ldsboundiPd
                                        ; -- End function
	.set _Z8ldsboundiPd.num_vgpr, 47
	.set _Z8ldsboundiPd.num_agpr, 0
	.set _Z8ldsboundiPd.numbered_sgpr, 96
	.set _Z8ldsboundiPd.num_named_barrier, 0
	.set _Z8ldsboundiPd.private_seg_size, 0
	.set _Z8ldsboundiPd.uses_vcc, 1
	.set _Z8ldsboundiPd.uses_flat_scratch, 0
	.set _Z8ldsboundiPd.has_dyn_sized_stack, 0
	.set _Z8ldsboundiPd.has_recursion, 0
	.set _Z8ldsboundiPd.has_indirect_call, 0
	.section	.AMDGPU.csdata,"",@progbits
; Kernel info:
; codeLenInByte = 3472
; TotalNumSgprs: 100
; NumVgprs: 47
; ScratchSize: 0
; MemoryBound: 0
; FloatMode: 240
; IeeeMode: 1
; LDSByteSize: 65536 bytes/workgroup (compile time only)
; SGPRBlocks: 12
; VGPRBlocks: 32
; NumSGPRsForWavesPerEU: 102
; NumVGPRsForWavesPerEU: 129
; Occupancy: 1
; WaveLimiterHint : 0
; COMPUTE_PGM_RSRC2:SCRATCH_EN: 0
; COMPUTE_PGM_RSRC2:USER_SGPR: 6
; COMPUTE_PGM_RSRC2:TRAP_HANDLER: 0
; COMPUTE_PGM_RSRC2:TGID_X_EN: 1
; COMPUTE_PGM_RSRC2:TGID_Y_EN: 0
; COMPUTE_PGM_RSRC2:TGID_Z_EN: 0
; COMPUTE_PGM_RSRC2:TIDIG_COMP_CNT: 0
	.text
	.protected	_Z9sgprboundiPd         ; -- Begin function _Z9sgprboundiPd
	.globl	_Z9sgprboundiPd
	.p2align	8
	.type	_Z9sgprboundiPd,@function
_Z9sgprboundiPd:                        ; @_Z9sgprboundiPd
; %bb.0:
	s_mov_b64 s[74:75], s[2:3]
                                        ; implicit-def: $vgpr31 : SGPR spill to VGPR lane
	s_mov_b64 s[72:73], s[0:1]
	v_writelane_b32 v31, s4, 0
	s_load_dwordx2 s[0:1], s[4:5], 0x8
	v_writelane_b32 v31, s5, 1
	s_add_u32 s72, s72, s7
	s_addc_u32 s73, s73, 0
	v_mov_b32_e32 v0, 0x968915a9
	s_waitcnt lgkmcnt(0)
	v_writelane_b32 v31, s0, 2
	v_writelane_b32 v31, s1, 3
	s_load_dwordx2 s[0:1], s[0:1], 0x0
	v_mov_b32_e32 v1, 0x3fba6564
	buffer_store_dword v0, off, s[72:75], 0 ; 4-byte Folded Spill
	s_nop 0
	buffer_store_dword v1, off, s[72:75], 0 offset:4 ; 4-byte Folded Spill
	v_mov_b32_e32 v2, 0xfca7ab0c
	v_mov_b32_e32 v3, 0x3e928af3
	;; [unrolled: 1-line block ×3, first 2 shown]
	s_mov_b32 s8, 0x55555555
	s_waitcnt lgkmcnt(0)
	v_mov_b32_e32 v0, s0
	s_mov_b32 s26, 0xfefa39ef
	s_mov_b32 s28, 0x3b39803f
	;; [unrolled: 1-line block ×3, first 2 shown]
	buffer_store_dword v2, off, s[72:75], 0 offset:8 ; 4-byte Folded Spill
	s_nop 0
	buffer_store_dword v3, off, s[72:75], 0 offset:12 ; 4-byte Folded Spill
	s_mov_b32 s42, 0x6a5dcb37
	s_mov_b32 s44, 0x623fde64
	;; [unrolled: 1-line block ×19, first 2 shown]
	v_mov_b32_e32 v11, 0
	s_mov_b32 s9, 0x3fe55555
	v_mov_b32_e32 v1, s1
	s_mov_b32 s27, 0x3fe62e42
	s_mov_b32 s29, 0x3c7abc9e
	;; [unrolled: 1-line block ×16, first 2 shown]
	v_mov_b32_e32 v30, 0x7ff80000
	s_mov_b32 s19, 0xbff921fb
	s_mov_b32 s21, 0xbc91a626
	;; [unrolled: 1-line block ×9, first 2 shown]
	v_mov_b32_e32 v2, 0x9037ab78
	v_mov_b32_e32 v3, 0x3e21eeb6
	;; [unrolled: 1-line block ×4, first 2 shown]
	s_movk_i32 s33, 0x64
	s_movk_i32 s34, 0x204
	s_brev_b32 s35, -2
	s_mov_b32 s12, 0
	s_mov_b32 s54, 0x55555555
	;; [unrolled: 1-line block ×7, first 2 shown]
	buffer_store_dword v2, off, s[72:75], 0 offset:16 ; 4-byte Folded Spill
	s_nop 0
	buffer_store_dword v3, off, s[72:75], 0 offset:20 ; 4-byte Folded Spill
.LBB3_1:                                ; =>This Inner Loop Header: Depth=1
	v_cmp_neq_f64_e32 vcc, 0, v[10:11]
	v_mov_b32_e32 v3, 0x3ff00000
	buffer_load_dword v4, off, s[72:75], 0  ; 4-byte Folded Reload
	buffer_load_dword v5, off, s[72:75], 0 offset:4 ; 4-byte Folded Reload
	s_mov_b32 s0, 0x4222de17
	s_mov_b32 s1, 0x3fbdee67
	v_cmp_neq_f64_e64 s[2:3], v[10:11], |v[10:11]|
	v_cndmask_b32_e32 v13, v3, v11, vcc
	v_cndmask_b32_e32 v12, 0, v10, vcc
	v_frexp_mant_f64_e64 v[14:15], |v[12:13]|
	v_cmp_lt_f64_e64 s[30:31], |v[12:13]|, 1.0
	v_cmp_gt_f64_e32 vcc, s[8:9], v[14:15]
	s_xor_b64 s[30:31], s[2:3], s[30:31]
	s_mov_b32 s2, 0
	s_mov_b32 s3, 0xc090cc00
	v_cndmask_b32_e64 v2, 0, 1, vcc
	v_ldexp_f64 v[14:15], v[14:15], v2
	v_frexp_exp_i32_f64_e32 v2, v[12:13]
	v_add_f64 v[16:17], v[14:15], 1.0
	v_add_f64 v[22:23], v[14:15], -1.0
	v_subbrev_co_u32_e32 v2, vcc, 0, v2, vcc
	v_rcp_f64_e32 v[18:19], v[16:17]
	v_add_f64 v[24:25], v[16:17], -1.0
	v_add_f64 v[14:15], v[14:15], -v[24:25]
	v_fma_f64 v[20:21], -v[16:17], v[18:19], 1.0
	v_fma_f64 v[18:19], v[20:21], v[18:19], v[18:19]
	v_fma_f64 v[20:21], -v[16:17], v[18:19], 1.0
	v_fma_f64 v[18:19], v[20:21], v[18:19], v[18:19]
	v_mul_f64 v[20:21], v[22:23], v[18:19]
	v_mul_f64 v[26:27], v[16:17], v[20:21]
	v_fma_f64 v[16:17], v[20:21], v[16:17], -v[26:27]
	v_fma_f64 v[14:15], v[20:21], v[14:15], v[16:17]
	v_add_f64 v[16:17], v[26:27], v[14:15]
	v_add_f64 v[24:25], v[22:23], -v[16:17]
	v_add_f64 v[26:27], v[16:17], -v[26:27]
	;; [unrolled: 1-line block ×5, first 2 shown]
	v_add_f64 v[14:15], v[14:15], v[16:17]
	v_add_f64 v[14:15], v[24:25], v[14:15]
	v_mul_f64 v[14:15], v[18:19], v[14:15]
	v_add_f64 v[16:17], v[20:21], v[14:15]
	v_add_f64 v[18:19], v[16:17], -v[20:21]
	v_mul_f64 v[20:21], v[16:17], v[16:17]
	v_add_f64 v[14:15], v[14:15], -v[18:19]
	v_fma_f64 v[18:19], v[16:17], v[16:17], -v[20:21]
	v_add_f64 v[22:23], v[14:15], v[14:15]
	v_fma_f64 v[22:23], v[16:17], v[22:23], v[18:19]
	v_add_f64 v[18:19], v[20:21], v[22:23]
	s_waitcnt vmcnt(0)
	v_fma_f64 v[24:25], v[18:19], s[0:1], v[4:5]
	s_mov_b32 s0, 0x3abe935a
	s_mov_b32 s1, 0x3fbe25e4
	v_add_f64 v[20:21], v[18:19], -v[20:21]
	v_mul_f64 v[28:29], v[16:17], v[18:19]
	buffer_load_dword v4, off, s[72:75], 0 offset:8 ; 4-byte Folded Reload
	buffer_load_dword v5, off, s[72:75], 0 offset:12 ; 4-byte Folded Reload
	v_fma_f64 v[24:25], v[18:19], v[24:25], s[0:1]
	s_mov_b32 s0, 0x47e6c9c2
	s_mov_b32 s1, 0x3fc110ef
	v_add_f64 v[20:21], v[22:23], -v[20:21]
	v_fma_f64 v[24:25], v[18:19], v[24:25], s[0:1]
	s_mov_b32 s0, 0xcfa74449
	s_mov_b32 s1, 0x3fc3b13b
	v_fma_f64 v[24:25], v[18:19], v[24:25], s[0:1]
	s_mov_b32 s0, 0x71bf3c30
	s_mov_b32 s1, 0x3fc745d1
	;; [unrolled: 3-line block ×6, first 2 shown]
	v_mul_f64 v[26:27], v[18:19], v[24:25]
	v_fma_f64 v[22:23], v[18:19], v[24:25], -v[26:27]
	v_fma_f64 v[22:23], v[20:21], v[24:25], v[22:23]
	v_fma_f64 v[24:25], v[18:19], v[16:17], -v[28:29]
	v_fma_f64 v[18:19], v[18:19], v[14:15], v[24:25]
	v_add_f64 v[24:25], v[26:27], v[22:23]
	v_ldexp_f64 v[14:15], v[14:15], 1
	v_fma_f64 v[18:19], v[20:21], v[16:17], v[18:19]
	v_add_f64 v[20:21], v[24:25], -v[26:27]
	v_add_f64 v[26:27], v[24:25], s[8:9]
	v_ldexp_f64 v[16:17], v[16:17], 1
	v_add_f64 v[20:21], v[22:23], -v[20:21]
	v_add_f64 v[22:23], v[26:27], s[0:1]
	s_mov_b32 s0, 0xd5df274d
	s_mov_b32 s1, 0x3c8543b0
	v_add_f64 v[20:21], v[20:21], s[0:1]
	v_add_f64 v[22:23], v[24:25], -v[22:23]
	v_add_f64 v[24:25], v[28:29], v[18:19]
	v_add_f64 v[20:21], v[20:21], v[22:23]
	v_add_f64 v[22:23], v[24:25], -v[28:29]
	v_add_f64 v[28:29], v[26:27], v[20:21]
	v_add_f64 v[18:19], v[18:19], -v[22:23]
	v_add_f64 v[22:23], v[26:27], -v[28:29]
	v_mul_f64 v[26:27], v[24:25], v[28:29]
	v_add_f64 v[20:21], v[20:21], v[22:23]
	v_fma_f64 v[22:23], v[24:25], v[28:29], -v[26:27]
	v_fma_f64 v[20:21], v[24:25], v[20:21], v[22:23]
	v_fma_f64 v[18:19], v[18:19], v[28:29], v[20:21]
	v_add_f64 v[20:21], v[26:27], v[18:19]
	v_add_f64 v[22:23], v[16:17], v[20:21]
	v_add_f64 v[24:25], v[20:21], -v[26:27]
	v_cvt_f64_i32_e32 v[26:27], v2
	v_mul_f64 v[28:29], v[26:27], s[26:27]
	v_add_f64 v[16:17], v[22:23], -v[16:17]
	v_add_f64 v[18:19], v[18:19], -v[24:25]
	v_fma_f64 v[24:25], v[26:27], s[26:27], -v[28:29]
	v_add_f64 v[16:17], v[20:21], -v[16:17]
	v_add_f64 v[14:15], v[14:15], v[18:19]
	v_fma_f64 v[18:19], v[26:27], s[28:29], v[24:25]
	v_add_f64 v[14:15], v[14:15], v[16:17]
	v_add_f64 v[16:17], v[28:29], v[18:19]
	;; [unrolled: 1-line block ×3, first 2 shown]
	v_add_f64 v[26:27], v[16:17], -v[28:29]
	v_add_f64 v[24:25], v[16:17], v[20:21]
	v_add_f64 v[22:23], v[20:21], -v[22:23]
	v_add_f64 v[18:19], v[18:19], -v[26:27]
	;; [unrolled: 1-line block ×6, first 2 shown]
	v_add_f64 v[22:23], v[18:19], v[14:15]
	v_add_f64 v[16:17], v[16:17], -v[26:27]
	v_add_f64 v[16:17], v[20:21], v[16:17]
	v_add_f64 v[20:21], v[22:23], -v[18:19]
	;; [unrolled: 2-line block ×3, first 2 shown]
	v_add_f64 v[14:15], v[14:15], -v[20:21]
	v_add_f64 v[26:27], v[24:25], v[16:17]
	v_add_f64 v[18:19], v[18:19], -v[22:23]
	v_add_f64 v[20:21], v[26:27], -v[24:25]
	v_add_f64 v[14:15], v[14:15], v[18:19]
	v_mul_f64 v[24:25], v[10:11], 0.5
	v_add_f64 v[16:17], v[16:17], -v[20:21]
	v_trunc_f64_e32 v[28:29], v[24:25]
	v_add_f64 v[14:15], v[14:15], v[16:17]
	v_cmp_neq_f64_e64 s[0:1], v[28:29], v[24:25]
	v_trunc_f64_e32 v[28:29], v[10:11]
	v_add_f64 v[16:17], v[26:27], v[14:15]
	v_add_f64 v[18:19], v[16:17], -v[26:27]
	v_mul_f64 v[20:21], v[10:11], v[16:17]
	v_add_f64 v[14:15], v[14:15], -v[18:19]
	v_fma_f64 v[16:17], v[10:11], v[16:17], -v[20:21]
	v_cmp_class_f64_e64 vcc, v[20:21], s34
	v_fma_f64 v[16:17], v[10:11], v[14:15], v[16:17]
	v_add_f64 v[22:23], v[20:21], v[16:17]
	v_cndmask_b32_e32 v15, v23, v21, vcc
	v_cndmask_b32_e32 v14, v22, v20, vcc
	v_mul_f64 v[18:19], v[14:15], s[36:37]
	v_cmp_eq_f64_e32 vcc, v[28:29], v[10:11]
	v_add_f64 v[22:23], v[22:23], -v[20:21]
	v_cmp_ngt_f64_e64 s[2:3], s[2:3], v[14:15]
	v_rndne_f64_e32 v[18:19], v[18:19]
	s_and_b64 s[0:1], vcc, s[0:1]
	v_cndmask_b32_e64 v21, v3, v13, s[0:1]
	v_cndmask_b32_e64 v20, 0, v13, s[0:1]
	v_add_f64 v[16:17], v[16:17], -v[22:23]
	v_cmp_neq_f64_e64 s[0:1], |v[14:15]|, s[16:17]
	v_fma_f64 v[26:27], v[18:19], s[38:39], v[14:15]
	v_cvt_i32_f64_e32 v2, v[18:19]
	v_cndmask_b32_e64 v17, 0, v17, s[0:1]
	v_cndmask_b32_e64 v16, 0, v16, s[0:1]
	s_mov_b32 s0, 0
	v_fma_f64 v[26:27], v[18:19], s[40:41], v[26:27]
	s_mov_b32 s1, 0x40900000
	v_cmp_nlt_f64_e64 s[0:1], s[0:1], v[14:15]
	s_waitcnt vmcnt(0)
	v_fma_f64 v[24:25], v[26:27], s[42:43], v[4:5]
	v_fma_f64 v[24:25], v[26:27], v[24:25], s[44:45]
	;; [unrolled: 1-line block ×9, first 2 shown]
	v_fma_f64 v[24:25], v[26:27], v[24:25], 1.0
	v_fma_f64 v[24:25], v[26:27], v[24:25], 1.0
	v_ldexp_f64 v[18:19], v[24:25], v2
	v_mov_b32_e32 v2, 0x7ff00000
	v_cndmask_b32_e64 v2, v2, v19, s[0:1]
	s_and_b64 s[0:1], s[2:3], s[0:1]
	v_cndmask_b32_e64 v15, 0, v2, s[2:3]
	v_cndmask_b32_e64 v14, 0, v18, s[0:1]
	s_and_b64 s[0:1], s[30:31], exec
	v_cmp_neq_f64_e64 s[2:3], |v[12:13]|, 1.0
	v_fma_f64 v[16:17], v[14:15], v[16:17], v[14:15]
	v_cmp_class_f64_e64 s[0:1], v[14:15], s34
	s_cselect_b32 s13, 0, 0x7ff00000
	s_and_b64 s[2:3], s[2:3], exec
	v_cmp_gt_f64_e64 s[2:3], 0, v[10:11]
	v_cndmask_b32_e64 v3, v17, v15, s[0:1]
	v_cndmask_b32_e64 v2, v16, v14, s[0:1]
	v_bfi_b32 v3, s35, v3, v21
	v_cndmask_b32_e32 v4, v30, v3, vcc
	v_cndmask_b32_e32 v5, 0, v2, vcc
	v_cmp_gt_f64_e32 vcc, 0, v[12:13]
	s_cselect_b32 s13, s13, 0x3ff00000
	s_and_b64 s[0:1], s[2:3], exec
	s_cselect_b32 s0, 0, 0x7ff00000
	v_mov_b32_e32 v7, s0
	v_cmp_class_f64_e64 s[0:1], v[12:13], s34
	v_mov_b32_e32 v6, s13
	v_bfi_b32 v7, s35, v7, v20
	v_cndmask_b32_e32 v2, v2, v5, vcc
	v_cndmask_b32_e32 v3, v3, v4, vcc
	v_cmp_class_f64_e64 vcc, v[10:11], s34
	v_cndmask_b32_e32 v3, v3, v6, vcc
	v_cndmask_b32_e64 v3, v3, v7, s[0:1]
	s_or_b64 s[0:1], s[0:1], vcc
	v_cmp_o_f64_e32 vcc, v[12:13], v[10:11]
	v_cndmask_b32_e64 v2, v2, 0, s[0:1]
	s_mov_b32 s0, 0
	s_mov_b32 s1, 0x41d00000
	v_cndmask_b32_e32 v10, 0, v2, vcc
	v_cndmask_b32_e32 v11, v30, v3, vcc
	v_cmp_nlt_f64_e64 s[0:1], |v[10:11]|, s[0:1]
	s_and_b64 vcc, exec, s[0:1]
	s_cbranch_vccz .LBB3_3
; %bb.2:                                ;   in Loop: Header=BB3_1 Depth=1
	v_trig_preop_f64 v[14:15], |v[10:11]|, 0
	s_mov_b32 s0, 0
	s_mov_b32 s1, 0x7b000000
	v_cmp_ge_f64_e64 vcc, |v[10:11]|, s[0:1]
	s_movk_i32 s0, 0xff80
	v_ldexp_f64 v[12:13], |v[10:11]|, s0
	v_trig_preop_f64 v[18:19], |v[10:11]|, 1
	v_and_b32_e32 v2, 0x7fffffff, v11
	s_mov_b32 s60, s18
	s_mov_b32 s23, s65
	v_cndmask_b32_e32 v13, v2, v13, vcc
	v_cndmask_b32_e32 v12, v10, v12, vcc
	v_mul_f64 v[20:21], v[14:15], v[12:13]
	v_mul_f64 v[26:27], v[18:19], v[12:13]
	v_fma_f64 v[22:23], v[14:15], v[12:13], -v[20:21]
	v_trig_preop_f64 v[14:15], |v[10:11]|, 2
	v_add_f64 v[16:17], v[26:27], v[22:23]
	v_add_f64 v[28:29], v[16:17], -v[26:27]
	v_add_f64 v[2:3], v[20:21], v[16:17]
	v_add_f64 v[24:25], v[22:23], -v[28:29]
	v_add_f64 v[28:29], v[16:17], -v[28:29]
	;; [unrolled: 1-line block ×3, first 2 shown]
	v_ldexp_f64 v[2:3], v[2:3], -2
	v_fma_f64 v[20:21], v[18:19], v[12:13], -v[26:27]
	v_mul_f64 v[18:19], v[14:15], v[12:13]
	v_add_f64 v[26:27], v[26:27], -v[28:29]
	v_add_f64 v[16:17], v[16:17], -v[22:23]
	v_fract_f64_e32 v[28:29], v[2:3]
	v_cmp_neq_f64_e64 vcc, |v[2:3]|, s[16:17]
	v_fma_f64 v[12:13], v[14:15], v[12:13], -v[18:19]
	v_add_f64 v[26:27], v[24:25], v[26:27]
	v_ldexp_f64 v[2:3], v[28:29], 2
	v_add_f64 v[28:29], v[18:19], v[20:21]
	v_cndmask_b32_e32 v25, 0, v3, vcc
	v_add_f64 v[22:23], v[28:29], v[26:27]
	v_cndmask_b32_e32 v24, 0, v2, vcc
	v_add_f64 v[4:5], v[28:29], -v[18:19]
	v_add_f64 v[2:3], v[22:23], -v[28:29]
	;; [unrolled: 1-line block ×3, first 2 shown]
	v_add_f64 v[20:21], v[16:17], v[22:23]
	v_add_f64 v[4:5], v[28:29], -v[4:5]
	v_add_f64 v[26:27], v[26:27], -v[2:3]
	;; [unrolled: 1-line block ×6, first 2 shown]
	v_add_f64 v[28:29], v[20:21], v[24:25]
	v_add_f64 v[14:15], v[22:23], -v[14:15]
	v_add_f64 v[4:5], v[6:7], v[4:5]
	v_add_f64 v[2:3], v[26:27], v[2:3]
	v_cmp_gt_f64_e32 vcc, 0, v[28:29]
	v_add_f64 v[2:3], v[4:5], v[2:3]
	s_and_b64 s[0:1], vcc, exec
	s_cselect_b32 s13, 0x40100000, 0
	v_add_f64 v[6:7], v[24:25], s[12:13]
	v_add_f64 v[2:3], v[12:13], v[2:3]
	;; [unrolled: 1-line block ×4, first 2 shown]
	v_cvt_i32_f64_e32 v24, v[24:25]
	v_cvt_f64_i32_e32 v[25:26], v24
	v_add_f64 v[6:7], v[6:7], -v[25:26]
	v_add_f64 v[4:5], v[20:21], v[6:7]
	v_add_f64 v[6:7], v[4:5], -v[6:7]
	v_cmp_le_f64_e32 vcc, 0.5, v[4:5]
	v_add_f64 v[6:7], v[20:21], -v[6:7]
	s_and_b64 s[0:1], vcc, exec
	s_cselect_b32 s13, 0x3ff00000, 0
	v_add_f64 v[4:5], v[4:5], -s[12:13]
	v_addc_co_u32_e32 v20, vcc, 0, v24, vcc
	v_add_f64 v[2:3], v[2:3], v[6:7]
	v_add_f64 v[6:7], v[4:5], v[2:3]
	v_mul_f64 v[14:15], v[6:7], s[60:61]
	v_add_f64 v[4:5], v[6:7], -v[4:5]
	v_fma_f64 v[12:13], v[6:7], s[60:61], -v[14:15]
	v_add_f64 v[2:3], v[2:3], -v[4:5]
	v_fma_f64 v[4:5], v[6:7], s[22:23], v[12:13]
	v_fma_f64 v[2:3], v[2:3], s[60:61], v[4:5]
	v_add_f64 v[12:13], v[14:15], v[2:3]
	v_add_f64 v[4:5], v[12:13], -v[14:15]
	v_add_f64 v[14:15], v[2:3], -v[4:5]
	s_cbranch_execz .LBB3_4
	s_branch .LBB3_5
.LBB3_3:                                ;   in Loop: Header=BB3_1 Depth=1
                                        ; implicit-def: $vgpr20
                                        ; implicit-def: $vgpr12_vgpr13
                                        ; implicit-def: $vgpr14_vgpr15
.LBB3_4:                                ;   in Loop: Header=BB3_1 Depth=1
	s_mov_b32 s0, 0x6dc9c883
	s_mov_b32 s1, 0x3fe45f30
	v_mul_f64 v[12:13], |v[10:11]|, s[0:1]
	s_mov_b32 s64, s20
	s_mov_b32 s0, 0x252049c0
	;; [unrolled: 1-line block ×3, first 2 shown]
	v_rndne_f64_e32 v[16:17], v[12:13]
	v_fma_f64 v[12:13], v[16:17], s[18:19], |v[10:11]|
	v_mul_f64 v[14:15], v[16:17], s[20:21]
	v_fma_f64 v[22:23], v[16:17], s[20:21], v[12:13]
	v_add_f64 v[18:19], v[12:13], v[14:15]
	v_add_f64 v[20:21], v[12:13], -v[18:19]
	v_add_f64 v[18:19], v[18:19], -v[22:23]
	v_add_f64 v[12:13], v[20:21], v[14:15]
	v_fma_f64 v[14:15], v[16:17], s[64:65], v[14:15]
	v_cvt_i32_f64_e32 v20, v[16:17]
	v_add_f64 v[12:13], v[18:19], v[12:13]
	v_add_f64 v[12:13], v[12:13], -v[14:15]
	v_fma_f64 v[14:15], v[16:17], s[0:1], v[12:13]
	v_add_f64 v[12:13], v[22:23], v[14:15]
	v_add_f64 v[18:19], v[12:13], -v[22:23]
	v_add_f64 v[14:15], v[14:15], -v[18:19]
.LBB3_5:                                ;   in Loop: Header=BB3_1 Depth=1
	buffer_load_dword v16, off, s[72:75], 0 offset:16 ; 4-byte Folded Reload
	buffer_load_dword v17, off, s[72:75], 0 offset:20 ; 4-byte Folded Reload
	v_mul_f64 v[18:19], v[12:13], v[12:13]
	s_mov_b32 s55, s15
	s_mov_b32 s53, s25
	s_movk_i32 s0, 0x1f8
	s_add_i32 s33, s33, -1
	s_cmp_eq_u32 s33, 0
	v_mul_f64 v[2:3], v[18:19], 0.5
	v_add_f64 v[4:5], -v[2:3], 1.0
	v_add_f64 v[6:7], -v[4:5], 1.0
	v_add_f64 v[2:3], v[6:7], -v[2:3]
	v_mul_f64 v[6:7], v[18:19], v[18:19]
	v_fma_f64 v[2:3], v[12:13], -v[14:15], v[2:3]
	s_waitcnt vmcnt(0)
	v_fma_f64 v[16:17], v[18:19], s[68:69], v[16:17]
	v_fma_f64 v[16:17], v[18:19], v[16:17], s[70:71]
	;; [unrolled: 1-line block ×5, first 2 shown]
	s_mov_b32 s55, 0xbfc55555
	v_fma_f64 v[2:3], v[6:7], v[16:17], v[2:3]
	v_mul_f64 v[6:7], v[14:15], 0.5
	v_add_f64 v[16:17], v[4:5], v[2:3]
	v_fma_f64 v[2:3], v[18:19], s[4:5], v[8:9]
	v_mul_f64 v[4:5], v[12:13], -v[18:19]
	v_fma_f64 v[2:3], v[18:19], v[2:3], s[66:67]
	v_fma_f64 v[2:3], v[18:19], v[2:3], s[10:11]
	;; [unrolled: 1-line block ×4, first 2 shown]
	v_fma_f64 v[2:3], v[18:19], v[2:3], -v[14:15]
	v_fma_f64 v[2:3], v[4:5], s[54:55], v[2:3]
	v_and_b32_e32 v4, 1, v20
	v_cmp_eq_u32_e32 vcc, 0, v4
	v_lshlrev_b32_e32 v4, 30, v20
	v_xor_b32_e32 v4, v4, v11
	v_and_b32_e32 v4, 0x80000000, v4
	v_add_f64 v[2:3], v[12:13], -v[2:3]
	v_cndmask_b32_e32 v2, v16, v2, vcc
	v_cndmask_b32_e32 v3, v17, v3, vcc
	v_cmp_class_f64_e64 vcc, v[10:11], s0
	v_xor_b32_e32 v3, v3, v4
	v_cndmask_b32_e32 v2, 0, v2, vcc
	v_cndmask_b32_e32 v3, v30, v3, vcc
	v_add_f64 v[0:1], v[0:1], v[2:3]
	s_cbranch_scc1 .LBB3_7
; %bb.6:                                ;   in Loop: Header=BB3_1 Depth=1
	v_mov_b32_e32 v11, v1
	v_mov_b32_e32 v10, v0
	s_branch .LBB3_1
.LBB3_7:
	v_readlane_b32 s0, v31, 0
	v_readlane_b32 s1, v31, 1
	s_load_dword s0, s[0:1], 0x0
	s_waitcnt lgkmcnt(0)
	v_cvt_f64_i32_e32 v[2:3], s0
	v_cmp_eq_f64_e32 vcc, v[0:1], v[2:3]
	s_cbranch_vccz .LBB3_9
; %bb.8:
	v_readlane_b32 s0, v31, 2
	v_mov_b32_e32 v2, 0
	v_readlane_b32 s1, v31, 3
	s_nop 4
	global_store_dwordx2 v2, v[0:1], s[0:1]
.LBB3_9:
	s_endpgm
	.section	.rodata,"a",@progbits
	.p2align	6, 0x0
	.amdhsa_kernel _Z9sgprboundiPd
		.amdhsa_group_segment_fixed_size 0
		.amdhsa_private_segment_fixed_size 28
		.amdhsa_kernarg_size 16
		.amdhsa_user_sgpr_count 6
		.amdhsa_user_sgpr_private_segment_buffer 1
		.amdhsa_user_sgpr_dispatch_ptr 0
		.amdhsa_user_sgpr_queue_ptr 0
		.amdhsa_user_sgpr_kernarg_segment_ptr 1
		.amdhsa_user_sgpr_dispatch_id 0
		.amdhsa_user_sgpr_flat_scratch_init 0
		.amdhsa_user_sgpr_private_segment_size 0
		.amdhsa_uses_dynamic_stack 0
		.amdhsa_system_sgpr_private_segment_wavefront_offset 1
		.amdhsa_system_sgpr_workgroup_id_x 1
		.amdhsa_system_sgpr_workgroup_id_y 0
		.amdhsa_system_sgpr_workgroup_id_z 0
		.amdhsa_system_sgpr_workgroup_info 0
		.amdhsa_system_vgpr_workitem_id 0
		.amdhsa_next_free_vgpr 32
		.amdhsa_next_free_sgpr 76
		.amdhsa_reserve_vcc 1
		.amdhsa_reserve_flat_scratch 0
		.amdhsa_float_round_mode_32 0
		.amdhsa_float_round_mode_16_64 0
		.amdhsa_float_denorm_mode_32 3
		.amdhsa_float_denorm_mode_16_64 3
		.amdhsa_dx10_clamp 1
		.amdhsa_ieee_mode 1
		.amdhsa_fp16_overflow 0
		.amdhsa_exception_fp_ieee_invalid_op 0
		.amdhsa_exception_fp_denorm_src 0
		.amdhsa_exception_fp_ieee_div_zero 0
		.amdhsa_exception_fp_ieee_overflow 0
		.amdhsa_exception_fp_ieee_underflow 0
		.amdhsa_exception_fp_ieee_inexact 0
		.amdhsa_exception_int_div_zero 0
	.end_amdhsa_kernel
	.text
.Lfunc_end3:
	.size	_Z9sgprboundiPd, .Lfunc_end3-_Z9sgprboundiPd
                                        ; -- End function
	.set _Z9sgprboundiPd.num_vgpr, 32
	.set _Z9sgprboundiPd.num_agpr, 0
	.set _Z9sgprboundiPd.numbered_sgpr, 76
	.set _Z9sgprboundiPd.num_named_barrier, 0
	.set _Z9sgprboundiPd.private_seg_size, 28
	.set _Z9sgprboundiPd.uses_vcc, 1
	.set _Z9sgprboundiPd.uses_flat_scratch, 0
	.set _Z9sgprboundiPd.has_dyn_sized_stack, 0
	.set _Z9sgprboundiPd.has_recursion, 0
	.set _Z9sgprboundiPd.has_indirect_call, 0
	.section	.AMDGPU.csdata,"",@progbits
; Kernel info:
; codeLenInByte = 3456
; TotalNumSgprs: 80
; NumVgprs: 32
; ScratchSize: 28
; MemoryBound: 0
; FloatMode: 240
; IeeeMode: 1
; LDSByteSize: 0 bytes/workgroup (compile time only)
; SGPRBlocks: 9
; VGPRBlocks: 7
; NumSGPRsForWavesPerEU: 80
; NumVGPRsForWavesPerEU: 32
; Occupancy: 8
; WaveLimiterHint : 0
; COMPUTE_PGM_RSRC2:SCRATCH_EN: 1
; COMPUTE_PGM_RSRC2:USER_SGPR: 6
; COMPUTE_PGM_RSRC2:TRAP_HANDLER: 0
; COMPUTE_PGM_RSRC2:TGID_X_EN: 1
; COMPUTE_PGM_RSRC2:TGID_Y_EN: 0
; COMPUTE_PGM_RSRC2:TGID_Z_EN: 0
; COMPUTE_PGM_RSRC2:TIDIG_COMP_CNT: 0
	.section	.AMDGPU.gpr_maximums,"",@progbits
	.set amdgpu.max_num_vgpr, 0
	.set amdgpu.max_num_agpr, 0
	.set amdgpu.max_num_sgpr, 0
	.section	.AMDGPU.csdata,"",@progbits
	.type	__hip_cuid_9f37f73028fab91e,@object ; @__hip_cuid_9f37f73028fab91e
	.section	.bss,"aw",@nobits
	.globl	__hip_cuid_9f37f73028fab91e
__hip_cuid_9f37f73028fab91e:
	.byte	0                               ; 0x0
	.size	__hip_cuid_9f37f73028fab91e, 1

	.ident	"AMD clang version 22.0.0git (https://github.com/RadeonOpenCompute/llvm-project roc-7.2.4 26084 f58b06dce1f9c15707c5f808fd002e18c2accf7e)"
	.section	".note.GNU-stack","",@progbits
	.addrsig
	.addrsig_sym __hip_cuid_9f37f73028fab91e
	.amdgpu_metadata
---
amdhsa.kernels:
  - .args:
      - .offset:         0
        .size:           4
        .value_kind:     by_value
      - .address_space:  global
        .offset:         8
        .size:           8
        .value_kind:     global_buffer
    .group_segment_fixed_size: 0
    .kernarg_segment_align: 8
    .kernarg_segment_size: 16
    .language:       OpenCL C
    .language_version:
      - 2
      - 0
    .max_flat_workgroup_size: 1024
    .name:           _Z5emptyiPd
    .private_segment_fixed_size: 0
    .sgpr_count:     4
    .sgpr_spill_count: 0
    .symbol:         _Z5emptyiPd.kd
    .uniform_work_group_size: 1
    .uses_dynamic_stack: false
    .vgpr_count:     0
    .vgpr_spill_count: 0
    .wavefront_size: 64
  - .args:
      - .offset:         0
        .size:           4
        .value_kind:     by_value
      - .address_space:  global
        .offset:         8
        .size:           8
        .value_kind:     global_buffer
    .group_segment_fixed_size: 0
    .kernarg_segment_align: 8
    .kernarg_segment_size: 16
    .language:       OpenCL C
    .language_version:
      - 2
      - 0
    .max_flat_workgroup_size: 256
    .name:           _Z9vgprboundiPd
    .private_segment_fixed_size: 0
    .sgpr_count:     100
    .sgpr_spill_count: 0
    .symbol:         _Z9vgprboundiPd.kd
    .uniform_work_group_size: 1
    .uses_dynamic_stack: false
    .vgpr_count:     83
    .vgpr_spill_count: 0
    .wavefront_size: 64
  - .args:
      - .offset:         0
        .size:           4
        .value_kind:     by_value
      - .address_space:  global
        .offset:         8
        .size:           8
        .value_kind:     global_buffer
      - .offset:         16
        .size:           4
        .value_kind:     hidden_block_count_x
      - .offset:         20
        .size:           4
        .value_kind:     hidden_block_count_y
      - .offset:         24
        .size:           4
        .value_kind:     hidden_block_count_z
      - .offset:         28
        .size:           2
        .value_kind:     hidden_group_size_x
      - .offset:         30
        .size:           2
        .value_kind:     hidden_group_size_y
      - .offset:         32
        .size:           2
        .value_kind:     hidden_group_size_z
      - .offset:         34
        .size:           2
        .value_kind:     hidden_remainder_x
      - .offset:         36
        .size:           2
        .value_kind:     hidden_remainder_y
      - .offset:         38
        .size:           2
        .value_kind:     hidden_remainder_z
      - .offset:         56
        .size:           8
        .value_kind:     hidden_global_offset_x
      - .offset:         64
        .size:           8
        .value_kind:     hidden_global_offset_y
      - .offset:         72
        .size:           8
        .value_kind:     hidden_global_offset_z
      - .offset:         80
        .size:           2
        .value_kind:     hidden_grid_dims
    .group_segment_fixed_size: 65536
    .kernarg_segment_align: 8
    .kernarg_segment_size: 272
    .language:       OpenCL C
    .language_version:
      - 2
      - 0
    .max_flat_workgroup_size: 256
    .name:           _Z8ldsboundiPd
    .private_segment_fixed_size: 0
    .sgpr_count:     100
    .sgpr_spill_count: 0
    .symbol:         _Z8ldsboundiPd.kd
    .uniform_work_group_size: 1
    .uses_dynamic_stack: false
    .vgpr_count:     47
    .vgpr_spill_count: 0
    .wavefront_size: 64
  - .args:
      - .offset:         0
        .size:           4
        .value_kind:     by_value
      - .address_space:  global
        .offset:         8
        .size:           8
        .value_kind:     global_buffer
    .group_segment_fixed_size: 0
    .kernarg_segment_align: 8
    .kernarg_segment_size: 16
    .language:       OpenCL C
    .language_version:
      - 2
      - 0
    .max_flat_workgroup_size: 1024
    .name:           _Z9sgprboundiPd
    .private_segment_fixed_size: 28
    .sgpr_count:     80
    .sgpr_spill_count: 4
    .symbol:         _Z9sgprboundiPd.kd
    .uniform_work_group_size: 1
    .uses_dynamic_stack: false
    .vgpr_count:     32
    .vgpr_spill_count: 6
    .wavefront_size: 64
amdhsa.target:   amdgcn-amd-amdhsa--gfx906
amdhsa.version:
  - 1
  - 2
...

	.end_amdgpu_metadata
